;; amdgpu-corpus repo=ROCm/rocFFT kind=compiled arch=gfx1030 opt=O3
	.text
	.amdgcn_target "amdgcn-amd-amdhsa--gfx1030"
	.amdhsa_code_object_version 6
	.protected	fft_rtc_fwd_len1360_factors_17_5_16_wgs_255_tpt_85_halfLds_sp_ip_CI_unitstride_sbrr_R2C_dirReg ; -- Begin function fft_rtc_fwd_len1360_factors_17_5_16_wgs_255_tpt_85_halfLds_sp_ip_CI_unitstride_sbrr_R2C_dirReg
	.globl	fft_rtc_fwd_len1360_factors_17_5_16_wgs_255_tpt_85_halfLds_sp_ip_CI_unitstride_sbrr_R2C_dirReg
	.p2align	8
	.type	fft_rtc_fwd_len1360_factors_17_5_16_wgs_255_tpt_85_halfLds_sp_ip_CI_unitstride_sbrr_R2C_dirReg,@function
fft_rtc_fwd_len1360_factors_17_5_16_wgs_255_tpt_85_halfLds_sp_ip_CI_unitstride_sbrr_R2C_dirReg: ; @fft_rtc_fwd_len1360_factors_17_5_16_wgs_255_tpt_85_halfLds_sp_ip_CI_unitstride_sbrr_R2C_dirReg
; %bb.0:
	s_load_dwordx4 s[8:11], s[4:5], 0x0
	v_mul_u32_u24_e32 v1, 0x304, v0
	s_clause 0x1
	s_load_dwordx2 s[2:3], s[4:5], 0x50
	s_load_dwordx2 s[12:13], s[4:5], 0x18
	v_mov_b32_e32 v5, 0
	v_mov_b32_e32 v3, 0
	;; [unrolled: 1-line block ×3, first 2 shown]
	v_lshrrev_b32_e32 v1, 16, v1
	v_mad_u64_u32 v[1:2], null, s6, 3, v[1:2]
	v_mov_b32_e32 v2, v5
	v_mov_b32_e32 v10, v2
	;; [unrolled: 1-line block ×3, first 2 shown]
	s_waitcnt lgkmcnt(0)
	v_cmp_lt_u64_e64 s0, s[10:11], 2
	s_and_b32 vcc_lo, exec_lo, s0
	s_cbranch_vccnz .LBB0_8
; %bb.1:
	s_load_dwordx2 s[0:1], s[4:5], 0x10
	v_mov_b32_e32 v3, 0
	v_mov_b32_e32 v8, v2
	s_add_u32 s6, s12, 8
	v_mov_b32_e32 v4, 0
	v_mov_b32_e32 v7, v1
	s_addc_u32 s7, s13, 0
	s_mov_b64 s[16:17], 1
	s_waitcnt lgkmcnt(0)
	s_add_u32 s14, s0, 8
	s_addc_u32 s15, s1, 0
.LBB0_2:                                ; =>This Inner Loop Header: Depth=1
	s_load_dwordx2 s[18:19], s[14:15], 0x0
                                        ; implicit-def: $vgpr9_vgpr10
	s_mov_b32 s0, exec_lo
	s_waitcnt lgkmcnt(0)
	v_or_b32_e32 v6, s19, v8
	v_cmpx_ne_u64_e32 0, v[5:6]
	s_xor_b32 s1, exec_lo, s0
	s_cbranch_execz .LBB0_4
; %bb.3:                                ;   in Loop: Header=BB0_2 Depth=1
	v_cvt_f32_u32_e32 v2, s18
	v_cvt_f32_u32_e32 v6, s19
	s_sub_u32 s0, 0, s18
	s_subb_u32 s20, 0, s19
	v_fmac_f32_e32 v2, 0x4f800000, v6
	v_rcp_f32_e32 v2, v2
	v_mul_f32_e32 v2, 0x5f7ffffc, v2
	v_mul_f32_e32 v6, 0x2f800000, v2
	v_trunc_f32_e32 v6, v6
	v_fmac_f32_e32 v2, 0xcf800000, v6
	v_cvt_u32_f32_e32 v6, v6
	v_cvt_u32_f32_e32 v2, v2
	v_mul_lo_u32 v9, s0, v6
	v_mul_hi_u32 v10, s0, v2
	v_mul_lo_u32 v11, s20, v2
	v_add_nc_u32_e32 v9, v10, v9
	v_mul_lo_u32 v10, s0, v2
	v_add_nc_u32_e32 v9, v9, v11
	v_mul_hi_u32 v11, v2, v10
	v_mul_lo_u32 v12, v2, v9
	v_mul_hi_u32 v13, v2, v9
	v_mul_hi_u32 v14, v6, v10
	v_mul_lo_u32 v10, v6, v10
	v_mul_hi_u32 v15, v6, v9
	v_mul_lo_u32 v9, v6, v9
	v_add_co_u32 v11, vcc_lo, v11, v12
	v_add_co_ci_u32_e32 v12, vcc_lo, 0, v13, vcc_lo
	v_add_co_u32 v10, vcc_lo, v11, v10
	v_add_co_ci_u32_e32 v10, vcc_lo, v12, v14, vcc_lo
	v_add_co_ci_u32_e32 v11, vcc_lo, 0, v15, vcc_lo
	v_add_co_u32 v9, vcc_lo, v10, v9
	v_add_co_ci_u32_e32 v10, vcc_lo, 0, v11, vcc_lo
	v_add_co_u32 v2, vcc_lo, v2, v9
	v_add_co_ci_u32_e32 v6, vcc_lo, v6, v10, vcc_lo
	v_mul_hi_u32 v9, s0, v2
	v_mul_lo_u32 v11, s20, v2
	v_mul_lo_u32 v10, s0, v6
	v_add_nc_u32_e32 v9, v9, v10
	v_mul_lo_u32 v10, s0, v2
	v_add_nc_u32_e32 v9, v9, v11
	v_mul_hi_u32 v11, v2, v10
	v_mul_lo_u32 v12, v2, v9
	v_mul_hi_u32 v13, v2, v9
	v_mul_hi_u32 v14, v6, v10
	v_mul_lo_u32 v10, v6, v10
	v_mul_hi_u32 v15, v6, v9
	v_mul_lo_u32 v9, v6, v9
	v_add_co_u32 v11, vcc_lo, v11, v12
	v_add_co_ci_u32_e32 v12, vcc_lo, 0, v13, vcc_lo
	v_add_co_u32 v10, vcc_lo, v11, v10
	v_add_co_ci_u32_e32 v10, vcc_lo, v12, v14, vcc_lo
	v_add_co_ci_u32_e32 v11, vcc_lo, 0, v15, vcc_lo
	v_add_co_u32 v9, vcc_lo, v10, v9
	v_add_co_ci_u32_e32 v10, vcc_lo, 0, v11, vcc_lo
	v_add_co_u32 v2, vcc_lo, v2, v9
	v_add_co_ci_u32_e32 v6, vcc_lo, v6, v10, vcc_lo
	v_mul_hi_u32 v15, v7, v2
	v_mad_u64_u32 v[11:12], null, v8, v2, 0
	v_mad_u64_u32 v[9:10], null, v7, v6, 0
	v_mad_u64_u32 v[13:14], null, v8, v6, 0
	v_add_co_u32 v2, vcc_lo, v15, v9
	v_add_co_ci_u32_e32 v6, vcc_lo, 0, v10, vcc_lo
	v_add_co_u32 v2, vcc_lo, v2, v11
	v_add_co_ci_u32_e32 v2, vcc_lo, v6, v12, vcc_lo
	v_add_co_ci_u32_e32 v6, vcc_lo, 0, v14, vcc_lo
	v_add_co_u32 v2, vcc_lo, v2, v13
	v_add_co_ci_u32_e32 v6, vcc_lo, 0, v6, vcc_lo
	v_mul_lo_u32 v11, s19, v2
	v_mad_u64_u32 v[9:10], null, s18, v2, 0
	v_mul_lo_u32 v12, s18, v6
	v_sub_co_u32 v9, vcc_lo, v7, v9
	v_add3_u32 v10, v10, v12, v11
	v_sub_nc_u32_e32 v11, v8, v10
	v_subrev_co_ci_u32_e64 v11, s0, s19, v11, vcc_lo
	v_add_co_u32 v12, s0, v2, 2
	v_add_co_ci_u32_e64 v13, s0, 0, v6, s0
	v_sub_co_u32 v14, s0, v9, s18
	v_sub_co_ci_u32_e32 v10, vcc_lo, v8, v10, vcc_lo
	v_subrev_co_ci_u32_e64 v11, s0, 0, v11, s0
	v_cmp_le_u32_e32 vcc_lo, s18, v14
	v_cmp_eq_u32_e64 s0, s19, v10
	v_cndmask_b32_e64 v14, 0, -1, vcc_lo
	v_cmp_le_u32_e32 vcc_lo, s19, v11
	v_cndmask_b32_e64 v15, 0, -1, vcc_lo
	v_cmp_le_u32_e32 vcc_lo, s18, v9
	;; [unrolled: 2-line block ×3, first 2 shown]
	v_cndmask_b32_e64 v16, 0, -1, vcc_lo
	v_cmp_eq_u32_e32 vcc_lo, s19, v11
	v_cndmask_b32_e64 v9, v16, v9, s0
	v_cndmask_b32_e32 v11, v15, v14, vcc_lo
	v_add_co_u32 v14, vcc_lo, v2, 1
	v_add_co_ci_u32_e32 v15, vcc_lo, 0, v6, vcc_lo
	v_cmp_ne_u32_e32 vcc_lo, 0, v11
	v_cndmask_b32_e32 v10, v15, v13, vcc_lo
	v_cndmask_b32_e32 v11, v14, v12, vcc_lo
	v_cmp_ne_u32_e32 vcc_lo, 0, v9
	v_cndmask_b32_e32 v10, v6, v10, vcc_lo
	v_cndmask_b32_e32 v9, v2, v11, vcc_lo
.LBB0_4:                                ;   in Loop: Header=BB0_2 Depth=1
	s_andn2_saveexec_b32 s0, s1
	s_cbranch_execz .LBB0_6
; %bb.5:                                ;   in Loop: Header=BB0_2 Depth=1
	v_cvt_f32_u32_e32 v2, s18
	s_sub_i32 s1, 0, s18
	v_rcp_iflag_f32_e32 v2, v2
	v_mul_f32_e32 v2, 0x4f7ffffe, v2
	v_cvt_u32_f32_e32 v2, v2
	v_mul_lo_u32 v6, s1, v2
	v_mul_hi_u32 v6, v2, v6
	v_add_nc_u32_e32 v2, v2, v6
	v_mul_hi_u32 v2, v7, v2
	v_mul_lo_u32 v6, v2, s18
	v_add_nc_u32_e32 v9, 1, v2
	v_sub_nc_u32_e32 v6, v7, v6
	v_subrev_nc_u32_e32 v10, s18, v6
	v_cmp_le_u32_e32 vcc_lo, s18, v6
	v_cndmask_b32_e32 v6, v6, v10, vcc_lo
	v_cndmask_b32_e32 v2, v2, v9, vcc_lo
	v_mov_b32_e32 v10, v5
	v_cmp_le_u32_e32 vcc_lo, s18, v6
	v_add_nc_u32_e32 v9, 1, v2
	v_cndmask_b32_e32 v9, v2, v9, vcc_lo
.LBB0_6:                                ;   in Loop: Header=BB0_2 Depth=1
	s_or_b32 exec_lo, exec_lo, s0
	s_load_dwordx2 s[0:1], s[6:7], 0x0
	v_mul_lo_u32 v2, v10, s18
	v_mul_lo_u32 v6, v9, s19
	v_mad_u64_u32 v[11:12], null, v9, s18, 0
	s_add_u32 s16, s16, 1
	s_addc_u32 s17, s17, 0
	s_add_u32 s6, s6, 8
	s_addc_u32 s7, s7, 0
	;; [unrolled: 2-line block ×3, first 2 shown]
	v_add3_u32 v2, v12, v6, v2
	v_sub_co_u32 v6, vcc_lo, v7, v11
	v_sub_co_ci_u32_e32 v2, vcc_lo, v8, v2, vcc_lo
	s_waitcnt lgkmcnt(0)
	v_mul_lo_u32 v7, s1, v6
	v_mul_lo_u32 v2, s0, v2
	v_mad_u64_u32 v[3:4], null, s0, v6, v[3:4]
	v_cmp_ge_u64_e64 s0, s[16:17], s[10:11]
	s_and_b32 vcc_lo, exec_lo, s0
	v_add3_u32 v4, v7, v4, v2
	s_cbranch_vccnz .LBB0_8
; %bb.7:                                ;   in Loop: Header=BB0_2 Depth=1
	v_mov_b32_e32 v7, v9
	v_mov_b32_e32 v8, v10
	s_branch .LBB0_2
.LBB0_8:
	s_lshl_b64 s[0:1], s[10:11], 3
	v_mul_hi_u32 v2, 0xaaaaaaab, v1
	s_add_u32 s0, s12, s0
	s_addc_u32 s1, s13, s1
	s_load_dwordx2 s[4:5], s[4:5], 0x20
	s_load_dwordx2 s[0:1], s[0:1], 0x0
	v_mul_hi_u32 v5, 0x3030304, v0
	v_lshrrev_b32_e32 v2, 1, v2
	v_lshl_add_u32 v6, v2, 1, v2
	v_sub_nc_u32_e32 v1, v1, v6
	s_waitcnt lgkmcnt(0)
	v_cmp_gt_u64_e32 vcc_lo, s[4:5], v[9:10]
	v_mul_lo_u32 v7, s0, v10
	v_mul_lo_u32 v8, s1, v9
	v_mad_u64_u32 v[2:3], null, s0, v9, v[3:4]
	v_mul_u32_u24_e32 v4, 0x55, v5
	v_mul_u32_u24_e32 v1, 0x551, v1
	v_sub_nc_u32_e32 v32, v0, v4
	v_add3_u32 v3, v8, v3, v7
	v_lshlrev_b32_e32 v57, 3, v1
	v_lshlrev_b32_e32 v55, 3, v32
	v_lshlrev_b64 v[34:35], 3, v[2:3]
	s_and_saveexec_b32 s1, vcc_lo
	s_cbranch_execz .LBB0_10
; %bb.9:
	v_mov_b32_e32 v33, 0
	v_add_co_u32 v2, s0, s2, v34
	v_add_co_ci_u32_e64 v3, s0, s3, v35, s0
	v_lshlrev_b64 v[0:1], 3, v[32:33]
	v_add3_u32 v33, 0, v57, v55
	v_add_nc_u32_e32 v36, 0x800, v33
	v_add_co_u32 v0, s0, v2, v0
	v_add_co_ci_u32_e64 v1, s0, v3, v1, s0
	v_add_nc_u32_e32 v37, 0xc00, v33
	v_add_co_u32 v2, s0, 0x800, v0
	v_add_co_ci_u32_e64 v3, s0, 0, v1, s0
	v_add_co_u32 v4, s0, 0x1000, v0
	v_add_co_ci_u32_e64 v5, s0, 0, v1, s0
	;; [unrolled: 2-line block ×3, first 2 shown]
	s_clause 0x7
	global_load_dwordx2 v[6:7], v[0:1], off
	global_load_dwordx2 v[8:9], v[0:1], off offset:680
	global_load_dwordx2 v[10:11], v[0:1], off offset:1360
	;; [unrolled: 1-line block ×7, first 2 shown]
	v_add_co_u32 v0, s0, 0x2000, v0
	v_add_co_ci_u32_e64 v1, s0, 0, v1, s0
	s_clause 0x7
	global_load_dwordx2 v[22:23], v[4:5], off offset:1344
	global_load_dwordx2 v[4:5], v[4:5], off offset:2024
	;; [unrolled: 1-line block ×8, first 2 shown]
	v_add_nc_u32_e32 v38, 0x1000, v33
	v_add_nc_u32_e32 v39, 0x1800, v33
	;; [unrolled: 1-line block ×4, first 2 shown]
	s_waitcnt vmcnt(14)
	ds_write2_b64 v33, v[6:7], v[8:9] offset1:85
	s_waitcnt vmcnt(12)
	ds_write2_b64 v33, v[10:11], v[12:13] offset0:170 offset1:255
	s_waitcnt vmcnt(10)
	ds_write2_b64 v36, v[14:15], v[16:17] offset0:84 offset1:169
	;; [unrolled: 2-line block ×7, first 2 shown]
.LBB0_10:
	s_or_b32 exec_lo, exec_lo, s1
	v_add3_u32 v56, 0, v55, v57
	s_waitcnt lgkmcnt(0)
	s_barrier
	buffer_gl0_inv
	v_add_nc_u32_e32 v33, 0, v57
	v_add_nc_u32_e32 v0, 0x2400, v56
	v_add_nc_u32_e32 v4, 0x400, v56
	v_add_nc_u32_e32 v58, 0x2000, v56
	v_add_nc_u32_e32 v59, 0x800, v56
	ds_read2_b64 v[12:15], v56 offset0:80 offset1:160
	ds_read2_b64 v[0:3], v0 offset0:48 offset1:128
	;; [unrolled: 1-line block ×4, first 2 shown]
	v_add_nc_u32_e32 v54, v33, v55
	v_add_nc_u32_e32 v60, 0x1800, v56
	ds_read_b64 v[40:41], v54
	ds_read2_b64 v[20:23], v59 offset0:144 offset1:224
	ds_read2_b64 v[16:19], v60 offset0:112 offset1:192
	v_add_nc_u32_e32 v61, 0x1000, v56
	s_mov_b32 s1, exec_lo
	s_waitcnt lgkmcnt(5)
	v_sub_f32_e32 v100, v12, v2
	v_sub_f32_e32 v51, v13, v3
	v_add_f32_e32 v82, v2, v12
	v_add_f32_e32 v84, v3, v13
	v_sub_f32_e32 v99, v14, v0
	v_sub_f32_e32 v53, v15, v1
	v_mul_f32_e32 v68, 0xbeb8f4ab, v51
	v_mul_f32_e32 v69, 0xbeb8f4ab, v100
	v_add_f32_e32 v80, v0, v14
	v_add_f32_e32 v83, v1, v15
	s_waitcnt lgkmcnt(3)
	v_sub_f32_e32 v52, v9, v7
	v_mul_f32_e32 v65, 0xbf2c7751, v53
	v_mul_f32_e32 v67, 0xbf2c7751, v99
	v_fmamk_f32 v24, v82, 0x3f6eb680, v68
	v_fma_f32 v25, 0x3f6eb680, v84, -v69
	v_add_f32_e32 v78, v6, v8
	v_mul_f32_e32 v63, 0xbf65296c, v52
	v_fmamk_f32 v26, v80, 0x3f3d2fb0, v65
	v_fma_f32 v27, 0x3f3d2fb0, v83, -v67
	s_waitcnt lgkmcnt(2)
	v_add_f32_e32 v24, v40, v24
	v_add_f32_e32 v25, v41, v25
	v_fmamk_f32 v28, v78, 0x3ee437d1, v63
	v_sub_f32_e32 v97, v8, v6
	v_sub_f32_e32 v50, v11, v5
	v_add_f32_e32 v24, v26, v24
	v_add_f32_e32 v37, v27, v25
	v_add_nc_u32_e32 v25, 0x1400, v56
	v_add_f32_e32 v81, v7, v9
	v_add_f32_e32 v77, v4, v10
	v_add_f32_e32 v39, v28, v24
	ds_read2_b64 v[24:27], v25 offset0:80 offset1:160
	ds_read2_b64 v[28:31], v61 offset0:48 offset1:128
	v_sub_f32_e32 v95, v10, v4
	v_mul_f32_e32 v64, 0xbf65296c, v97
	v_mul_f32_e32 v62, 0xbf7ee86f, v50
	s_waitcnt lgkmcnt(2)
	v_sub_f32_e32 v154, v21, v19
	v_add_f32_e32 v79, v5, v11
	v_mul_f32_e32 v66, 0xbf7ee86f, v95
	v_fma_f32 v36, 0x3ee437d1, v81, -v64
	v_fmamk_f32 v38, v77, 0x3dbcf732, v62
	v_add_f32_e32 v86, v18, v20
	v_mul_f32_e32 v70, 0xbf763a35, v154
	v_sub_f32_e32 v107, v20, v18
	v_fma_f32 v42, 0x3dbcf732, v79, -v66
	v_add_f32_e32 v36, v36, v37
	v_add_f32_e32 v37, v38, v39
	v_fmamk_f32 v38, v86, 0xbe8c1d8e, v70
	v_add_f32_e32 v87, v19, v21
	v_mul_f32_e32 v72, 0xbf763a35, v107
	v_sub_f32_e32 v155, v23, v17
	v_sub_f32_e32 v108, v22, v16
	v_add_f32_e32 v36, v42, v36
	v_add_f32_e32 v37, v38, v37
	v_fma_f32 v38, 0xbe8c1d8e, v87, -v72
	v_add_f32_e32 v88, v16, v22
	v_mul_f32_e32 v71, 0xbf4c4adb, v155
	v_add_f32_e32 v89, v17, v23
	v_mul_f32_e32 v73, 0xbf4c4adb, v108
	s_waitcnt lgkmcnt(0)
	v_sub_f32_e32 v150, v29, v27
	v_sub_f32_e32 v111, v28, v26
	v_add_f32_e32 v36, v38, v36
	v_fmamk_f32 v38, v88, 0xbf1a4643, v71
	v_fma_f32 v39, 0xbf1a4643, v89, -v73
	v_add_f32_e32 v91, v26, v28
	v_mul_f32_e32 v74, 0xbf06c442, v150
	v_add_f32_e32 v92, v27, v29
	v_mul_f32_e32 v75, 0xbf06c442, v111
	v_add_f32_e32 v37, v38, v37
	v_add_f32_e32 v36, v39, v36
	v_fmamk_f32 v38, v91, 0xbf59a7d5, v74
	v_mul_f32_e32 v102, 0xbf2c7751, v51
	v_fma_f32 v39, 0xbf59a7d5, v92, -v75
	v_mul_f32_e32 v113, 0xbf2c7751, v100
	v_mul_f32_e32 v104, 0xbf7ee86f, v53
	v_add_f32_e32 v37, v38, v37
	v_fmamk_f32 v38, v82, 0x3f3d2fb0, v102
	v_add_f32_e32 v36, v39, v36
	v_fma_f32 v39, 0x3f3d2fb0, v84, -v113
	v_mul_f32_e32 v116, 0xbf7ee86f, v99
	v_fmamk_f32 v42, v80, 0x3dbcf732, v104
	v_add_f32_e32 v38, v40, v38
	v_mul_f32_e32 v105, 0xbf4c4adb, v52
	v_add_f32_e32 v39, v41, v39
	v_fma_f32 v43, 0x3dbcf732, v83, -v116
	v_mul_f32_e32 v114, 0xbf4c4adb, v97
	v_add_f32_e32 v38, v42, v38
	v_fmamk_f32 v42, v78, 0xbf1a4643, v105
	v_mul_f32_e32 v106, 0xbe3c28d5, v50
	v_add_f32_e32 v39, v43, v39
	v_fma_f32 v43, 0xbf1a4643, v81, -v114
	v_mul_f32_e32 v115, 0xbe3c28d5, v95
	v_add_f32_e32 v38, v42, v38
	v_fmamk_f32 v42, v77, 0xbf7ba420, v106
	v_mul_f32_e32 v103, 0x3f06c442, v154
	v_add_f32_e32 v39, v43, v39
	v_fma_f32 v43, 0xbf7ba420, v79, -v115
	v_mul_f32_e32 v110, 0x3f06c442, v107
	v_add_f32_e32 v38, v42, v38
	v_fmamk_f32 v42, v86, 0xbf59a7d5, v103
	v_mul_f32_e32 v90, 0x3f763a35, v155
	v_add_f32_e32 v39, v43, v39
	v_fma_f32 v43, 0xbf59a7d5, v87, -v110
	v_mul_f32_e32 v109, 0x3f763a35, v108
	v_sub_f32_e32 v151, v31, v25
	v_sub_f32_e32 v117, v30, v24
	v_add_f32_e32 v38, v42, v38
	v_add_f32_e32 v39, v43, v39
	v_fmamk_f32 v42, v88, 0xbe8c1d8e, v90
	v_fma_f32 v43, 0xbe8c1d8e, v89, -v109
	v_mul_f32_e32 v93, 0x3f65296c, v150
	v_mul_f32_e32 v96, 0x3f65296c, v111
	v_add_f32_e32 v101, v24, v30
	v_mul_f32_e32 v76, 0xbe3c28d5, v151
	v_add_f32_e32 v112, v25, v31
	;; [unrolled: 2-line block ×3, first 2 shown]
	v_add_f32_e32 v39, v43, v39
	v_fmamk_f32 v42, v91, 0x3ee437d1, v93
	v_fma_f32 v43, 0x3ee437d1, v92, -v96
	v_mul_f32_e32 v94, 0x3eb8f4ab, v151
	v_mul_f32_e32 v98, 0x3eb8f4ab, v117
	v_fmamk_f32 v44, v101, 0xbf7ba420, v76
	v_fma_f32 v45, 0xbf7ba420, v112, -v85
	v_add_f32_e32 v42, v42, v38
	v_add_f32_e32 v43, v43, v39
	v_fmamk_f32 v46, v101, 0x3f6eb680, v94
	v_fma_f32 v47, 0x3f6eb680, v112, -v98
	v_add_f32_e32 v38, v44, v37
	v_add_f32_e32 v39, v45, v36
	;; [unrolled: 1-line block ×4, first 2 shown]
	s_barrier
	buffer_gl0_inv
	v_cmpx_gt_u32_e32 0x50, v32
	s_cbranch_execz .LBB0_12
; %bb.11:
	v_mul_f32_e32 v133, 0x3ee437d1, v84
	v_mul_f32_e32 v130, 0xbf1a4643, v83
	;; [unrolled: 1-line block ×5, first 2 shown]
	v_fmamk_f32 v42, v100, 0x3f65296c, v133
	v_fmamk_f32 v44, v99, 0x3f4c4adb, v130
	v_fmamk_f32 v43, v82, 0x3ee437d1, v124
	v_mul_f32_e32 v127, 0xbe8c1d8e, v79
	v_mul_f32_e32 v126, 0x3e3c28d5, v52
	v_add_f32_e32 v42, v41, v42
	v_fmamk_f32 v45, v80, 0xbf1a4643, v125
	v_add_f32_e32 v43, v40, v43
	v_fmamk_f32 v46, v97, 0xbe3c28d5, v129
	v_mul_f32_e32 v122, 0x3f3d2fb0, v87
	v_add_f32_e32 v42, v44, v42
	v_mul_f32_e32 v128, 0x3f763a35, v50
	v_fmamk_f32 v44, v78, 0xbf7ba420, v126
	v_add_f32_e32 v43, v45, v43
	v_fmamk_f32 v45, v95, 0xbf763a35, v127
	v_add_f32_e32 v42, v46, v42
	v_mul_f32_e32 v123, 0x3f2c7751, v154
	v_fmamk_f32 v46, v77, 0xbe8c1d8e, v128
	v_add_f32_e32 v43, v44, v43
	v_fmamk_f32 v44, v107, 0xbf2c7751, v122
	v_add_f32_e32 v42, v45, v42
	v_mul_f32_e32 v131, 0x3f6eb680, v89
	v_fmamk_f32 v45, v86, 0x3f3d2fb0, v123
	v_add_f32_e32 v43, v46, v43
	v_mul_f32_e32 v121, 0xbeb8f4ab, v155
	v_add_f32_e32 v42, v44, v42
	v_fmamk_f32 v44, v108, 0x3eb8f4ab, v131
	v_mul_f32_e32 v132, 0x3dbcf732, v92
	v_add_f32_e32 v43, v45, v43
	v_fmamk_f32 v45, v88, 0x3f6eb680, v121
	v_mul_f32_e32 v120, 0xbf7ee86f, v150
	v_add_f32_e32 v42, v44, v42
	v_fmamk_f32 v44, v111, 0x3f7ee86f, v132
	v_mul_f32_e32 v118, 0xbf59a7d5, v112
	v_add_f32_e32 v43, v45, v43
	v_fmamk_f32 v45, v91, 0x3dbcf732, v120
	v_mul_f32_e32 v149, 0x3dbcf732, v84
	v_add_f32_e32 v42, v44, v42
	v_fmamk_f32 v44, v117, 0x3f06c442, v118
	v_mul_f32_e32 v147, 0xbf7ba420, v83
	v_add_f32_e32 v45, v45, v43
	v_mul_f32_e32 v148, 0xbe8c1d8e, v81
	v_mul_f32_e32 v145, 0xbf7ee86f, v51
	v_add_f32_e32 v43, v44, v42
	v_fmamk_f32 v42, v100, 0x3f7ee86f, v149
	v_fmamk_f32 v47, v99, 0x3e3c28d5, v147
	v_mul_f32_e32 v144, 0x3f6eb680, v79
	v_fmamk_f32 v46, v82, 0x3dbcf732, v145
	v_mul_f32_e32 v146, 0xbe3c28d5, v53
	v_add_f32_e32 v42, v41, v42
	v_mul_f32_e32 v143, 0x3ee437d1, v87
	v_mul_f32_e32 v119, 0xbf06c442, v151
	v_add_f32_e32 v46, v40, v46
	v_fmamk_f32 v48, v80, 0xbf7ba420, v146
	v_add_f32_e32 v42, v47, v42
	v_fmamk_f32 v47, v97, 0xbf763a35, v148
	v_mul_f32_e32 v142, 0x3f763a35, v52
	v_mul_f32_e32 v141, 0xbf59a7d5, v89
	v_fmamk_f32 v44, v101, 0xbf59a7d5, v119
	v_add_f32_e32 v46, v48, v46
	v_add_f32_e32 v42, v47, v42
	v_fmamk_f32 v47, v95, 0xbeb8f4ab, v144
	v_fmamk_f32 v48, v78, 0xbe8c1d8e, v142
	v_mul_f32_e32 v140, 0x3eb8f4ab, v50
	v_mul_f32_e32 v136, 0xbf1a4643, v92
	;; [unrolled: 1-line block ×3, first 2 shown]
	v_add_f32_e32 v42, v47, v42
	v_fmamk_f32 v47, v107, 0x3f65296c, v143
	v_add_f32_e32 v46, v48, v46
	v_fmamk_f32 v48, v77, 0x3f6eb680, v140
	v_mul_f32_e32 v139, 0xbf65296c, v154
	v_fmamk_f32 v49, v111, 0xbf4c4adb, v136
	v_add_f32_e32 v42, v47, v42
	v_fmamk_f32 v47, v108, 0x3f06c442, v141
	v_mul_f32_e32 v158, 0xbf59a7d5, v83
	v_mul_f32_e32 v159, 0xbf763a35, v51
	v_add_f32_e32 v46, v48, v46
	v_fmamk_f32 v48, v86, 0x3ee437d1, v139
	v_add_f32_e32 v47, v47, v42
	v_add_f32_e32 v42, v44, v45
	v_fmamk_f32 v45, v100, 0x3f763a35, v157
	v_mul_f32_e32 v138, 0xbf06c442, v155
	v_mul_f32_e32 v160, 0x3f3d2fb0, v81
	v_add_f32_e32 v44, v49, v47
	v_fmamk_f32 v47, v99, 0xbf06c442, v158
	v_add_f32_e32 v45, v41, v45
	v_fmamk_f32 v49, v82, 0xbe8c1d8e, v159
	v_mul_f32_e32 v161, 0x3f06c442, v53
	v_add_f32_e32 v46, v48, v46
	v_fmamk_f32 v48, v88, 0xbf59a7d5, v138
	v_mul_f32_e32 v137, 0x3f4c4adb, v150
	;; [unrolled: 3-line block ×7, first 2 shown]
	v_add_f32_e32 v46, v48, v46
	v_fmamk_f32 v48, v117, 0xbf2c7751, v134
	v_add_f32_e32 v47, v47, v45
	v_fmamk_f32 v152, v107, 0x3e3c28d5, v164
	v_mul_f32_e32 v166, 0x3dbcf732, v89
	v_add_f32_e32 v49, v135, v49
	v_fmamk_f32 v135, v77, 0x3ee437d1, v165
	v_mul_f32_e32 v167, 0xbe3c28d5, v154
	v_add_f32_e32 v45, v48, v44
	v_add_f32_e32 v44, v152, v47
	v_fmamk_f32 v47, v108, 0xbf7ee86f, v166
	v_add_f32_e32 v48, v135, v49
	v_fmamk_f32 v49, v86, 0xbf7ba420, v167
	v_mul_f32_e32 v168, 0x3f7ee86f, v155
	v_mul_f32_e32 v169, 0x3f6eb680, v92
	;; [unrolled: 1-line block ×3, first 2 shown]
	v_add_f32_e32 v44, v47, v44
	v_add_f32_e32 v47, v49, v48
	v_fmamk_f32 v48, v88, 0x3dbcf732, v168
	v_mul_f32_e32 v170, 0xbeb8f4ab, v150
	v_fmamk_f32 v49, v111, 0x3eb8f4ab, v169
	v_mul_f32_e32 v171, 0xbf1a4643, v112
	v_fmamk_f32 v152, v101, 0x3f3d2fb0, v135
	v_add_f32_e32 v47, v48, v47
	v_fmamk_f32 v48, v91, 0x3f6eb680, v170
	v_add_f32_e32 v49, v49, v44
	v_fmamk_f32 v153, v117, 0x3f4c4adb, v171
	v_mul_f32_e32 v156, 0xbf1a4643, v84
	v_mul_f32_e32 v172, 0xbf4c4adb, v51
	v_add_f32_e32 v44, v152, v46
	v_add_f32_e32 v46, v48, v47
	v_add_f32_e32 v47, v153, v49
	v_fmamk_f32 v48, v100, 0x3f4c4adb, v156
	v_mul_f32_e32 v173, 0xbe8c1d8e, v83
	v_fmamk_f32 v49, v82, 0xbf1a4643, v172
	v_mul_f32_e32 v175, 0x3f763a35, v53
	v_mul_f32_e32 v176, 0x3f6eb680, v81
	v_add_f32_e32 v48, v41, v48
	v_fmamk_f32 v152, v99, 0xbf763a35, v173
	v_add_f32_e32 v49, v40, v49
	v_fmamk_f32 v153, v80, 0xbe8c1d8e, v175
	v_mul_f32_e32 v177, 0xbeb8f4ab, v52
	v_mul_f32_e32 v178, 0xbf59a7d5, v79
	v_add_f32_e32 v48, v152, v48
	v_fmamk_f32 v152, v97, 0x3eb8f4ab, v176
	v_add_f32_e32 v49, v153, v49
	;; [unrolled: 6-line block ×4, first 2 shown]
	v_fmamk_f32 v153, v86, 0x3dbcf732, v181
	v_mul_f32_e32 v183, 0xbf2c7751, v155
	v_mul_f32_e32 v174, 0xbf4c4adb, v151
	v_add_f32_e32 v48, v152, v48
	v_fmamk_f32 v152, v108, 0x3f2c7751, v182
	v_mul_f32_e32 v184, 0xbf7ba420, v92
	v_add_f32_e32 v49, v153, v49
	v_fmamk_f32 v153, v88, 0x3f3d2fb0, v183
	v_mul_f32_e32 v185, 0xbe3c28d5, v150
	v_fmamk_f32 v186, v101, 0xbf1a4643, v174
	v_add_f32_e32 v48, v152, v48
	v_fmamk_f32 v187, v111, 0x3e3c28d5, v184
	v_add_f32_e32 v49, v153, v49
	v_mul_f32_e32 v152, 0x3ee437d1, v112
	v_fmamk_f32 v188, v91, 0xbf7ba420, v185
	v_mul_f32_e32 v153, 0x3f65296c, v151
	v_add_f32_e32 v46, v186, v46
	v_add_f32_e32 v48, v187, v48
	v_fmamk_f32 v186, v117, 0xbf65296c, v152
	v_mul_f32_e32 v187, 0xbf59a7d5, v84
	v_add_f32_e32 v188, v188, v49
	v_fmamk_f32 v189, v101, 0x3ee437d1, v153
	v_mul_f32_e32 v190, 0xbf06c442, v51
	;; [unrolled: 3-line block ×26, first 2 shown]
	v_add_f32_e32 v50, v52, v50
	v_mul_f32_e32 v216, 0xbf763a35, v150
	v_mul_f32_e32 v213, 0xbf763a35, v151
	v_add_f32_e32 v52, v186, v53
	v_fmamk_f32 v53, v86, 0xbf1a4643, v210
	v_mul_f32_e32 v186, 0x3f65296c, v155
	v_fmamk_f32 v155, v108, 0xbf65296c, v214
	v_fmac_f32_e32 v187, 0xbf06c442, v100
	v_mul_f32_e32 v215, 0xbe8c1d8e, v92
	v_add_f32_e32 v52, v53, v52
	v_fmamk_f32 v53, v88, 0x3ee437d1, v186
	v_fmamk_f32 v154, v101, 0xbe8c1d8e, v213
	v_add_f32_e32 v150, v41, v187
	v_add_f32_e32 v155, v155, v50
	v_fmamk_f32 v187, v111, 0x3f763a35, v215
	v_add_f32_e32 v52, v53, v52
	v_fmamk_f32 v53, v91, 0xbe8c1d8e, v216
	v_add_f32_e32 v50, v154, v188
	v_mul_f32_e32 v188, 0x3dbcf732, v112
	v_add_f32_e32 v154, v187, v155
	v_mul_f32_e32 v187, 0x3f7ee86f, v151
	v_add_f32_e32 v52, v53, v52
	v_fma_f32 v53, 0xbf59a7d5, v82, -v190
	v_fma_f32 v151, 0x3ee437d1, v80, -v189
	;; [unrolled: 1-line block ×3, first 2 shown]
	v_fmamk_f32 v155, v117, 0xbf7ee86f, v188
	v_fma_f32 v190, 0x3dbcf732, v78, -v195
	v_add_f32_e32 v53, v40, v53
	v_fmac_f32_e32 v157, 0xbf763a35, v100
	v_fmac_f32_e32 v204, 0xbe3c28d5, v100
	;; [unrolled: 1-line block ×4, first 2 shown]
	v_add_f32_e32 v151, v151, v53
	v_fmac_f32_e32 v133, 0xbf65296c, v100
	v_add_f32_e32 v100, v40, v145
	v_fma_f32 v145, 0xbf7ba420, v80, -v146
	v_fmac_f32_e32 v191, 0x3f65296c, v99
	v_add_f32_e32 v53, v155, v154
	v_add_f32_e32 v151, v190, v151
	v_fma_f32 v154, 0xbf1a4643, v77, -v197
	v_fma_f32 v155, 0xbe8c1d8e, v82, -v159
	v_fmac_f32_e32 v158, 0x3f06c442, v99
	v_fmac_f32_e32 v206, 0x3eb8f4ab, v99
	;; [unrolled: 1-line block ×5, first 2 shown]
	v_add_f32_e32 v99, v41, v133
	v_add_f32_e32 v100, v145, v100
	v_fma_f32 v133, 0xbe8c1d8e, v78, -v142
	v_add_f32_e32 v150, v191, v150
	v_fmac_f32_e32 v193, 0xbf7ee86f, v97
	v_add_f32_e32 v151, v154, v151
	v_fma_f32 v154, 0x3f6eb680, v86, -v199
	v_add_f32_e32 v157, v41, v157
	v_add_f32_e32 v155, v40, v155
	v_fma_f32 v159, 0xbf59a7d5, v80, -v161
	v_fmac_f32_e32 v160, 0x3f2c7751, v97
	v_fmac_f32_e32 v209, 0xbf06c442, v97
	;; [unrolled: 1-line block ×5, first 2 shown]
	v_add_f32_e32 v97, v133, v100
	v_fma_f32 v100, 0x3f6eb680, v77, -v140
	v_add_f32_e32 v150, v193, v150
	v_fmac_f32_e32 v196, 0x3f4c4adb, v95
	v_add_f32_e32 v151, v154, v151
	v_fma_f32 v154, 0xbf7ba420, v88, -v201
	v_add_f32_e32 v157, v158, v157
	v_add_f32_e32 v155, v159, v155
	v_fma_f32 v158, 0x3f3d2fb0, v78, -v163
	v_fmac_f32_e32 v162, 0xbf65296c, v95
	v_fmac_f32_e32 v208, 0x3f2c7751, v95
	;; [unrolled: 1-line block ×5, first 2 shown]
	v_add_f32_e32 v95, v100, v97
	v_fma_f32 v97, 0x3ee437d1, v86, -v139
	v_fma_f32 v124, 0x3ee437d1, v82, -v124
	v_add_f32_e32 v150, v196, v150
	v_fmac_f32_e32 v198, 0xbeb8f4ab, v107
	v_add_f32_e32 v151, v154, v151
	v_add_f32_e32 v154, v160, v157
	;; [unrolled: 1-line block ×3, first 2 shown]
	v_fma_f32 v157, 0x3ee437d1, v77, -v165
	v_fmac_f32_e32 v164, 0xbe3c28d5, v107
	v_fmac_f32_e32 v192, 0xbf4c4adb, v107
	v_fmac_f32_e32 v180, 0x3f7ee86f, v107
	v_fmac_f32_e32 v143, 0xbf65296c, v107
	v_fmac_f32_e32 v122, 0x3f2c7751, v107
	v_add_f32_e32 v95, v97, v95
	v_fma_f32 v97, 0xbf59a7d5, v88, -v138
	v_add_f32_e32 v107, v40, v124
	v_fma_f32 v124, 0xbf1a4643, v80, -v125
	v_add_f32_e32 v150, v198, v150
	v_fmac_f32_e32 v200, 0xbe3c28d5, v108
	v_add_f32_e32 v155, v157, v155
	v_fma_f32 v157, 0xbf7ba420, v86, -v167
	v_add_f32_e32 v159, v41, v204
	v_add_f32_e32 v95, v97, v95
	;; [unrolled: 1-line block ×3, first 2 shown]
	v_fma_f32 v107, 0xbf7ba420, v78, -v126
	v_add_f32_e32 v150, v200, v150
	v_fmac_f32_e32 v202, 0x3f2c7751, v111
	v_fma_f32 v158, 0x3f3d2fb0, v91, -v203
	v_add_f32_e32 v154, v162, v154
	v_fmac_f32_e32 v166, 0x3f7ee86f, v108
	v_add_f32_e32 v155, v157, v155
	v_fma_f32 v157, 0x3dbcf732, v88, -v168
	v_add_f32_e32 v159, v206, v159
	v_fmac_f32_e32 v214, 0x3f65296c, v108
	v_fmac_f32_e32 v182, 0xbf2c7751, v108
	;; [unrolled: 1-line block ×4, first 2 shown]
	v_fma_f32 v108, 0xbf1a4643, v91, -v137
	v_add_f32_e32 v97, v107, v97
	v_fma_f32 v107, 0xbe8c1d8e, v77, -v128
	v_add_f32_e32 v150, v202, v150
	v_add_f32_e32 v154, v164, v154
	;; [unrolled: 1-line block ×3, first 2 shown]
	v_fmac_f32_e32 v205, 0xbf763a35, v117
	v_add_f32_e32 v155, v157, v155
	v_add_f32_e32 v157, v209, v159
	v_fma_f32 v159, 0xbe8c1d8e, v101, -v213
	v_add_f32_e32 v95, v108, v95
	v_add_f32_e32 v97, v107, v97
	v_mul_f32_e32 v107, 0x3f3d2fb0, v84
	v_fma_f32 v108, 0x3f3d2fb0, v86, -v123
	v_add_f32_e32 v154, v166, v154
	v_add_f32_e32 v151, v205, v150
	v_fmac_f32_e32 v169, 0xbeb8f4ab, v111
	v_fma_f32 v160, 0x3f6eb680, v91, -v170
	v_add_f32_e32 v150, v159, v158
	v_fma_f32 v159, 0xbf7ba420, v82, -v207
	v_fmac_f32_e32 v215, 0xbf763a35, v111
	v_fmac_f32_e32 v184, 0xbe3c28d5, v111
	;; [unrolled: 1-line block ×4, first 2 shown]
	v_mul_f32_e32 v111, 0x3dbcf732, v83
	v_add_f32_e32 v107, v113, v107
	v_add_f32_e32 v97, v108, v97
	v_fma_f32 v108, 0x3f6eb680, v88, -v121
	v_add_f32_e32 v154, v169, v154
	v_add_f32_e32 v158, v160, v155
	v_fmac_f32_e32 v171, 0xbf4c4adb, v117
	v_fma_f32 v160, 0xbf1a4643, v101, -v174
	v_add_f32_e32 v159, v40, v159
	v_fma_f32 v161, 0x3f6eb680, v80, -v194
	v_add_f32_e32 v111, v116, v111
	v_add_f32_e32 v107, v41, v107
	;; [unrolled: 1-line block ×3, first 2 shown]
	v_mul_f32_e32 v108, 0xbf1a4643, v81
	v_add_f32_e32 v155, v171, v154
	v_add_f32_e32 v154, v160, v158
	;; [unrolled: 1-line block ×3, first 2 shown]
	v_fma_f32 v159, 0xbf59a7d5, v78, -v211
	v_fma_f32 v160, 0xbf1a4643, v82, -v172
	v_fmac_f32_e32 v188, 0x3f7ee86f, v117
	v_fmac_f32_e32 v152, 0x3f65296c, v117
	;; [unrolled: 1-line block ×4, first 2 shown]
	v_mul_f32_e32 v113, 0x3f6eb680, v82
	v_mul_f32_e32 v82, 0x3f3d2fb0, v82
	v_add_f32_e32 v107, v111, v107
	v_mul_f32_e32 v116, 0x3f3d2fb0, v83
	v_fma_f32 v83, 0x3dbcf732, v91, -v120
	v_add_f32_e32 v108, v114, v108
	v_mul_f32_e32 v117, 0x3ee437d1, v81
	v_mul_f32_e32 v81, 0xbf7ba420, v79
	v_add_f32_e32 v158, v159, v158
	v_fma_f32 v159, 0x3f3d2fb0, v77, -v212
	v_add_f32_e32 v160, v40, v160
	v_fma_f32 v161, 0xbe8c1d8e, v80, -v175
	v_mul_f32_e32 v111, 0x3f3d2fb0, v80
	v_mul_f32_e32 v80, 0x3dbcf732, v80
	v_add_f32_e32 v97, v83, v97
	v_add_f32_e32 v83, v108, v107
	v_mul_f32_e32 v108, 0x3dbcf732, v79
	v_add_f32_e32 v79, v115, v81
	v_sub_f32_e32 v81, v82, v102
	v_add_f32_e32 v13, v41, v13
	v_add_f32_e32 v12, v40, v12
	;; [unrolled: 1-line block ×3, first 2 shown]
	v_fma_f32 v159, 0xbf1a4643, v86, -v210
	v_add_f32_e32 v160, v161, v160
	v_fma_f32 v161, 0x3f6eb680, v78, -v177
	v_mul_f32_e32 v114, 0x3ee437d1, v78
	v_mul_f32_e32 v78, 0xbf1a4643, v78
	v_sub_f32_e32 v80, v80, v104
	v_add_f32_e32 v81, v40, v81
	v_add_f32_e32 v13, v13, v15
	;; [unrolled: 1-line block ×4, first 2 shown]
	v_fma_f32 v159, 0x3ee437d1, v88, -v186
	v_add_f32_e32 v160, v161, v160
	v_fma_f32 v161, 0xbf59a7d5, v77, -v179
	v_mul_f32_e32 v107, 0x3dbcf732, v77
	v_mul_f32_e32 v77, 0xbf7ba420, v77
	v_add_f32_e32 v104, v79, v83
	v_add_f32_e32 v79, v80, v81
	v_sub_f32_e32 v78, v78, v105
	v_add_f32_e32 v9, v13, v9
	v_add_f32_e32 v8, v12, v8
	;; [unrolled: 1-line block ×3, first 2 shown]
	v_fma_f32 v159, 0xbe8c1d8e, v91, -v216
	v_add_f32_e32 v160, v161, v160
	v_fma_f32 v161, 0x3dbcf732, v86, -v181
	v_mul_f32_e32 v115, 0xbe8c1d8e, v86
	v_mul_f32_e32 v82, 0xbf59a7d5, v86
	;; [unrolled: 1-line block ×3, first 2 shown]
	v_add_f32_e32 v78, v78, v79
	v_sub_f32_e32 v106, v77, v106
	v_add_f32_e32 v9, v9, v11
	v_add_f32_e32 v10, v8, v10
	;; [unrolled: 1-line block ×4, first 2 shown]
	v_fma_f32 v160, 0x3f3d2fb0, v88, -v183
	v_mul_f32_e32 v102, 0xbe8c1d8e, v87
	v_mul_f32_e32 v87, 0xbf1a4643, v88
	;; [unrolled: 1-line block ×5, first 2 shown]
	v_add_f32_e32 v86, v110, v86
	v_add_f32_e32 v78, v106, v78
	v_sub_f32_e32 v82, v82, v103
	v_add_f32_e32 v9, v9, v21
	v_add_f32_e32 v10, v10, v20
	;; [unrolled: 1-line block ×3, first 2 shown]
	v_fma_f32 v160, 0xbf7ba420, v91, -v185
	v_mul_f32_e32 v80, 0xbf59a7d5, v91
	v_mul_f32_e32 v105, 0xbf59a7d5, v92
	;; [unrolled: 1-line block ×4, first 2 shown]
	v_add_f32_e32 v86, v86, v104
	v_add_f32_e32 v89, v109, v89
	;; [unrolled: 1-line block ×3, first 2 shown]
	v_sub_f32_e32 v14, v88, v90
	v_add_f32_e32 v9, v9, v23
	v_add_f32_e32 v10, v10, v22
	v_mul_f32_e32 v84, 0x3f6eb680, v84
	v_mul_f32_e32 v121, 0xbf7ba420, v112
	;; [unrolled: 1-line block ×3, first 2 shown]
	v_add_f32_e32 v86, v89, v86
	v_add_f32_e32 v89, v96, v92
	;; [unrolled: 1-line block ×3, first 2 shown]
	v_sub_f32_e32 v13, v91, v93
	v_add_f32_e32 v9, v9, v29
	v_add_f32_e32 v10, v10, v28
	;; [unrolled: 1-line block ×6, first 2 shown]
	v_sub_f32_e32 v14, v113, v68
	v_add_f32_e32 v9, v9, v31
	v_add_f32_e32 v10, v10, v30
	v_add_f32_e32 v149, v41, v149
	v_add_f32_e32 v8, v86, v15
	v_add_f32_e32 v12, v41, v12
	v_add_f32_e32 v15, v67, v116
	v_add_f32_e32 v14, v40, v14
	v_sub_f32_e32 v20, v111, v65
	v_add_f32_e32 v9, v9, v25
	v_add_f32_e32 v10, v10, v24
	v_add_f32_e32 v99, v130, v99
	v_add_f32_e32 v147, v147, v149
	v_add_f32_e32 v156, v41, v156
	v_add_f32_e32 v12, v15, v12
	v_add_f32_e32 v15, v64, v117
	v_add_f32_e32 v14, v20, v14
	v_sub_f32_e32 v20, v114, v63
	v_add_f32_e32 v9, v9, v27
	;; [unrolled: 9-line block ×4, first 2 shown]
	v_add_f32_e32 v10, v10, v18
	v_add_f32_e32 v99, v122, v99
	;; [unrolled: 1-line block ×8, first 2 shown]
	v_sub_f32_e32 v16, v87, v71
	v_add_f32_e32 v5, v9, v5
	v_add_f32_e32 v4, v10, v4
	;; [unrolled: 1-line block ×6, first 2 shown]
	v_mul_f32_e32 v110, 0xbf7ba420, v101
	v_add_f32_e32 v12, v15, v12
	v_add_f32_e32 v15, v75, v105
	;; [unrolled: 1-line block ×3, first 2 shown]
	v_sub_f32_e32 v10, v80, v74
	v_add_f32_e32 v5, v5, v7
	v_add_f32_e32 v4, v4, v6
	v_add_f32_e32 v99, v132, v99
	v_mul_f32_e32 v122, 0x3f6eb680, v101
	v_add_f32_e32 v100, v136, v100
	v_add_f32_e32 v156, v182, v156
	;; [unrolled: 1-line block ×6, first 2 shown]
	v_sub_f32_e32 v9, v110, v76
	v_add_f32_e32 v5, v5, v1
	v_add_f32_e32 v4, v4, v0
	v_mul_u32_u24_e32 v10, 0x88, v32
	v_add_f32_e32 v83, v118, v99
	v_fma_f32 v99, 0xbf59a7d5, v101, -v119
	v_sub_f32_e32 v13, v122, v94
	v_add_f32_e32 v81, v134, v100
	v_fma_f32 v100, 0x3f3d2fb0, v101, -v135
	v_add_f32_e32 v156, v184, v156
	v_add_f32_e32 v149, v160, v159
	v_fma_f32 v124, 0x3ee437d1, v101, -v153
	v_fmamk_f32 v189, v101, 0x3dbcf732, v187
	v_add_f32_e32 v157, v215, v157
	v_fma_f32 v123, 0x3dbcf732, v101, -v187
	v_add_f32_e32 v1, v6, v12
	v_add_f32_e32 v0, v9, v7
	;; [unrolled: 1-line block ×4, first 2 shown]
	v_add3_u32 v4, 0, v10, v57
	v_add_f32_e32 v82, v99, v97
	v_add_f32_e32 v7, v13, v11
	;; [unrolled: 1-line block ×8, first 2 shown]
	ds_write2_b64 v4, v[2:3], v[0:1] offset1:1
	ds_write2_b64 v4, v[7:8], v[82:83] offset0:2 offset1:3
	ds_write2_b64 v4, v[80:81], v[154:155] offset0:4 offset1:5
	;; [unrolled: 1-line block ×7, first 2 shown]
	ds_write_b64 v4, v[38:39] offset:128
.LBB0_12:
	s_or_b32 exec_lo, exec_lo, s1
	v_add_nc_u32_e32 v0, 0xc00, v56
	v_add_nc_u32_e32 v1, 0x1c00, v56
	s_waitcnt lgkmcnt(0)
	s_barrier
	buffer_gl0_inv
	ds_read_b64 v[42:43], v54
	ds_read2_b64 v[24:27], v59 offset0:16 offset1:101
	ds_read2_b64 v[8:11], v0 offset0:58 offset1:160
	;; [unrolled: 1-line block ×7, first 2 shown]
	v_cmp_gt_u32_e64 s0, 17, v32
                                        ; implicit-def: $vgpr41
                                        ; implicit-def: $vgpr31
                                        ; implicit-def: $vgpr29
	s_and_saveexec_b32 s1, s0
	s_cbranch_execz .LBB0_14
; %bb.13:
	ds_read_b64 v[36:37], v56 offset:2040
	ds_read_b64 v[38:39], v56 offset:4216
	;; [unrolled: 1-line block ×5, first 2 shown]
.LBB0_14:
	s_or_b32 exec_lo, exec_lo, s1
	v_and_b32_e32 v44, 0xff, v32
	v_add_nc_u16 v58, v32, 0x55
	v_add_nc_u16 v59, v32, 0xaa
	v_mul_lo_u16 v44, 0xf1, v44
	v_and_b32_e32 v47, 0xff, v58
	v_lshrrev_b16 v45, 12, v44
	v_mov_b32_e32 v44, 5
	v_mul_lo_u16 v46, v45, 17
	v_and_b32_e32 v79, 0xffff, v45
	v_mov_b32_e32 v45, 3
	v_sub_nc_u16 v74, v32, v46
	v_mul_lo_u16 v46, 0xf1, v47
	v_and_b32_e32 v47, 0xff, v59
	v_mad_u32_u24 v79, 0x2a8, v79, 0
	v_lshlrev_b32_sdwa v50, v44, v74 dst_sel:DWORD dst_unused:UNUSED_PAD src0_sel:DWORD src1_sel:BYTE_0
	v_lshrrev_b16 v75, 12, v46
	v_mul_lo_u16 v60, 0xf1, v47
	v_lshlrev_b32_sdwa v74, v45, v74 dst_sel:DWORD dst_unused:UNUSED_PAD src0_sel:DWORD src1_sel:BYTE_0
	global_load_dwordx4 v[46:49], v50, s[8:9]
	v_mul_lo_u16 v61, v75, 17
	v_lshrrev_b16 v76, 12, v60
	v_and_b32_e32 v75, 0xffff, v75
	v_add3_u32 v74, v79, v74, v57
	v_sub_nc_u16 v77, v58, v61
	v_mul_lo_u16 v58, v76, 17
	v_and_b32_e32 v76, 0xffff, v76
	v_mad_u32_u24 v75, 0x2a8, v75, 0
	v_lshlrev_b32_sdwa v62, v44, v77 dst_sel:DWORD dst_unused:UNUSED_PAD src0_sel:DWORD src1_sel:BYTE_0
	v_sub_nc_u16 v78, v59, v58
	v_mad_u32_u24 v76, 0x2a8, v76, 0
	v_lshlrev_b32_sdwa v77, v45, v77 dst_sel:DWORD dst_unused:UNUSED_PAD src0_sel:DWORD src1_sel:BYTE_0
	s_clause 0x1
	global_load_dwordx4 v[58:61], v62, s[8:9]
	global_load_dwordx4 v[50:53], v50, s[8:9] offset:16
	v_lshlrev_b32_sdwa v70, v44, v78 dst_sel:DWORD dst_unused:UNUSED_PAD src0_sel:DWORD src1_sel:BYTE_0
	s_clause 0x2
	global_load_dwordx4 v[62:65], v62, s[8:9] offset:16
	global_load_dwordx4 v[66:69], v70, s[8:9]
	global_load_dwordx4 v[70:73], v70, s[8:9] offset:16
	v_lshlrev_b32_sdwa v78, v45, v78 dst_sel:DWORD dst_unused:UNUSED_PAD src0_sel:DWORD src1_sel:BYTE_0
	v_add3_u32 v75, v75, v77, v57
	s_waitcnt vmcnt(0) lgkmcnt(0)
	s_barrier
	buffer_gl0_inv
	v_add3_u32 v76, v76, v78, v57
	v_mul_f32_e32 v77, v47, v25
	v_mul_f32_e32 v47, v47, v24
	;; [unrolled: 1-line block ×4, first 2 shown]
	v_fma_f32 v24, v46, v24, -v77
	v_fmac_f32_e32 v47, v46, v25
	v_fma_f32 v10, v48, v10, -v78
	v_fmac_f32_e32 v49, v48, v11
	v_mul_f32_e32 v79, v51, v13
	v_mul_f32_e32 v51, v51, v12
	;; [unrolled: 1-line block ×5, first 2 shown]
	v_fma_f32 v11, v50, v12, -v79
	v_fmac_f32_e32 v51, v50, v13
	v_fma_f32 v25, v52, v6, -v80
	v_fmac_f32_e32 v53, v52, v7
	v_mul_f32_e32 v6, v59, v27
	v_mul_f32_e32 v7, v59, v26
	;; [unrolled: 1-line block ×15, first 2 shown]
	v_fma_f32 v6, v58, v26, -v6
	v_fmac_f32_e32 v7, v58, v27
	v_fma_f32 v12, v60, v20, -v12
	v_fmac_f32_e32 v13, v60, v21
	;; [unrolled: 2-line block ×3, first 2 shown]
	v_fmac_f32_e32 v52, v17, v64
	v_fmac_f32_e32 v61, v9, v66
	;; [unrolled: 1-line block ×3, first 2 shown]
	v_fma_f32 v21, v4, v70, -v67
	v_fmac_f32_e32 v69, v5, v70
	v_fma_f32 v27, v18, v72, -v71
	v_add_f32_e32 v4, v42, v24
	v_add_f32_e32 v5, v10, v11
	v_sub_f32_e32 v9, v24, v10
	v_sub_f32_e32 v17, v25, v11
	v_add_f32_e32 v18, v24, v25
	v_add_f32_e32 v23, v43, v47
	;; [unrolled: 1-line block ×4, first 2 shown]
	v_fma_f32 v26, v16, v64, -v50
	v_fma_f32 v14, v22, v68, -v63
	v_fmac_f32_e32 v73, v19, v72
	v_sub_f32_e32 v15, v47, v53
	v_sub_f32_e32 v19, v10, v24
	;; [unrolled: 1-line block ×6, first 2 shown]
	v_fma_f32 v8, v8, v66, -v59
	v_sub_f32_e32 v50, v10, v11
	v_sub_f32_e32 v59, v53, v51
	v_add_f32_e32 v10, v4, v10
	v_fma_f32 v4, -0.5, v5, v42
	v_add_f32_e32 v63, v9, v17
	v_fma_f32 v42, -0.5, v18, v42
	;; [unrolled: 2-line block ×3, first 2 shown]
	v_fmac_f32_e32 v43, -0.5, v60
	v_add_f32_e32 v17, v0, v6
	v_add_f32_e32 v18, v12, v20
	;; [unrolled: 1-line block ×5, first 2 shown]
	v_sub_f32_e32 v19, v6, v12
	v_sub_f32_e32 v22, v26, v20
	v_add_f32_e32 v23, v6, v26
	v_add_f32_e32 v62, v1, v7
	;; [unrolled: 1-line block ×3, first 2 shown]
	v_sub_f32_e32 v24, v24, v25
	v_add_f32_e32 v79, v2, v8
	v_add_f32_e32 v80, v14, v21
	;; [unrolled: 1-line block ×6, first 2 shown]
	v_sub_f32_e32 v16, v49, v51
	v_add_f32_e32 v46, v58, v59
	v_sub_f32_e32 v49, v7, v52
	v_sub_f32_e32 v59, v12, v6
	;; [unrolled: 1-line block ×3, first 2 shown]
	v_add_f32_e32 v96, v10, v11
	v_fmamk_f32 v6, v15, 0x3f737871, v4
	v_fmac_f32_e32 v4, 0xbf737871, v15
	v_add_f32_e32 v51, v9, v51
	v_fmamk_f32 v9, v50, 0x3f737871, v43
	v_fmac_f32_e32 v43, 0xbf737871, v50
	v_add_f32_e32 v17, v17, v12
	v_fma_f32 v10, -0.5, v18, v0
	v_fma_f32 v11, -0.5, v66, v1
	v_sub_f32_e32 v58, v13, v48
	v_sub_f32_e32 v68, v12, v20
	v_add_f32_e32 v97, v19, v22
	v_fma_f32 v0, -0.5, v23, v0
	v_add_f32_e32 v19, v62, v13
	v_fma_f32 v1, -0.5, v72, v1
	v_sub_f32_e32 v70, v7, v13
	v_sub_f32_e32 v77, v13, v7
	;; [unrolled: 1-line block ×6, first 2 shown]
	v_fmamk_f32 v7, v24, 0xbf737871, v5
	v_fmac_f32_e32 v5, 0x3f737871, v24
	v_add_f32_e32 v22, v79, v14
	v_fma_f32 v12, -0.5, v80, v2
	v_fma_f32 v2, -0.5, v85, v2
	v_add_f32_e32 v23, v88, v65
	v_fma_f32 v13, -0.5, v89, v3
	v_fmac_f32_e32 v3, -0.5, v94
	v_sub_f32_e32 v83, v8, v14
	v_sub_f32_e32 v86, v14, v8
	v_fmamk_f32 v8, v16, 0xbf737871, v42
	v_fmac_f32_e32 v42, 0x3f737871, v16
	v_sub_f32_e32 v60, v20, v26
	v_sub_f32_e32 v71, v52, v48
	v_fmac_f32_e32 v6, 0x3f167918, v16
	v_fmac_f32_e32 v4, 0xbf167918, v16
	;; [unrolled: 1-line block ×4, first 2 shown]
	v_add_f32_e32 v24, v17, v20
	v_fmamk_f32 v16, v49, 0x3f737871, v10
	v_fmamk_f32 v17, v67, 0xbf737871, v11
	v_sub_f32_e32 v78, v48, v52
	v_add_f32_e32 v14, v96, v25
	v_fmamk_f32 v18, v58, 0xbf737871, v0
	v_fmac_f32_e32 v0, 0x3f737871, v58
	v_add_f32_e32 v25, v19, v48
	v_fmamk_f32 v19, v68, 0x3f737871, v1
	v_fmac_f32_e32 v1, 0xbf737871, v68
	v_sub_f32_e32 v84, v27, v21
	v_sub_f32_e32 v87, v21, v27
	;; [unrolled: 1-line block ×6, first 2 shown]
	v_fmac_f32_e32 v7, 0xbf167918, v50
	v_fmac_f32_e32 v5, 0x3f167918, v50
	;; [unrolled: 1-line block ×4, first 2 shown]
	v_add_f32_e32 v48, v22, v21
	v_fmamk_f32 v20, v81, 0x3f737871, v12
	v_fmac_f32_e32 v12, 0xbf737871, v81
	v_fmamk_f32 v22, v82, 0xbf737871, v2
	v_fmac_f32_e32 v2, 0x3f737871, v82
	v_add_f32_e32 v50, v23, v69
	v_fmamk_f32 v21, v90, 0xbf737871, v13
	v_fmac_f32_e32 v13, 0x3f737871, v90
	v_fmamk_f32 v23, v91, 0x3f737871, v3
	v_fmac_f32_e32 v3, 0xbf737871, v91
	v_fmac_f32_e32 v8, 0x3f167918, v15
	;; [unrolled: 1-line block ×3, first 2 shown]
	v_add_f32_e32 v59, v59, v60
	v_add_f32_e32 v60, v70, v71
	v_fmac_f32_e32 v16, 0x3f167918, v58
	v_fmac_f32_e32 v17, 0xbf167918, v68
	v_add_f32_e32 v62, v77, v78
	v_fmac_f32_e32 v18, 0x3f167918, v49
	v_fmac_f32_e32 v0, 0xbf167918, v49
	;; [unrolled: 1-line block ×4, first 2 shown]
	v_add_f32_e32 v66, v83, v84
	v_add_f32_e32 v70, v86, v87
	;; [unrolled: 1-line block ×5, first 2 shown]
	v_fmac_f32_e32 v6, 0x3e9e377a, v63
	v_fmac_f32_e32 v7, 0x3e9e377a, v46
	;; [unrolled: 1-line block ×18, first 2 shown]
	v_add_f32_e32 v24, v24, v26
	v_add_f32_e32 v25, v25, v52
	v_fmac_f32_e32 v16, 0x3e9e377a, v97
	v_fmac_f32_e32 v17, 0x3e9e377a, v60
	;; [unrolled: 1-line block ×6, first 2 shown]
	v_add_f32_e32 v26, v48, v27
	v_add_f32_e32 v27, v50, v73
	v_fmac_f32_e32 v10, 0x3e9e377a, v97
	v_fmac_f32_e32 v11, 0x3e9e377a, v60
	;; [unrolled: 1-line block ×10, first 2 shown]
	ds_write2_b64 v74, v[14:15], v[6:7] offset1:17
	ds_write2_b64 v74, v[8:9], v[42:43] offset0:34 offset1:51
	ds_write_b64 v74, v[4:5] offset:544
	ds_write2_b64 v75, v[24:25], v[16:17] offset1:17
	ds_write2_b64 v75, v[18:19], v[0:1] offset0:34 offset1:51
	ds_write_b64 v75, v[10:11] offset:544
	ds_write2_b64 v76, v[26:27], v[20:21] offset1:17
	ds_write2_b64 v76, v[22:23], v[2:3] offset0:34 offset1:51
	ds_write_b64 v76, v[12:13] offset:544
	s_and_saveexec_b32 s1, s0
	s_cbranch_execz .LBB0_16
; %bb.15:
	v_add_nc_u32_e32 v0, 0xff, v32
	v_mov_b32_e32 v1, 0xf0f1
	v_mul_u32_u24_sdwa v1, v0, v1 dst_sel:DWORD dst_unused:UNUSED_PAD src0_sel:WORD_0 src1_sel:DWORD
	v_lshrrev_b32_e32 v1, 20, v1
	v_mul_lo_u16 v1, v1, 17
	v_sub_nc_u16 v8, v0, v1
	v_lshlrev_b32_sdwa v4, v44, v8 dst_sel:DWORD dst_unused:UNUSED_PAD src0_sel:DWORD src1_sel:WORD_0
	v_lshlrev_b32_sdwa v8, v45, v8 dst_sel:DWORD dst_unused:UNUSED_PAD src0_sel:DWORD src1_sel:WORD_0
	s_clause 0x1
	global_load_dwordx4 v[0:3], v4, s[8:9]
	global_load_dwordx4 v[4:7], v4, s[8:9] offset:16
	v_add3_u32 v10, 0, v8, v57
	v_add_nc_u32_e32 v11, 0x2400, v10
	v_add_nc_u32_e32 v12, 0x2800, v10
	s_waitcnt vmcnt(1)
	v_mul_f32_e32 v8, v28, v3
	v_mul_f32_e32 v9, v38, v1
	s_waitcnt vmcnt(0)
	v_mul_f32_e32 v13, v30, v5
	v_mul_f32_e32 v14, v40, v7
	;; [unrolled: 1-line block ×6, first 2 shown]
	v_fmac_f32_e32 v8, v29, v2
	v_fmac_f32_e32 v9, v39, v0
	;; [unrolled: 1-line block ×4, first 2 shown]
	v_fma_f32 v15, v40, v6, -v7
	v_fma_f32 v6, v28, v2, -v3
	;; [unrolled: 1-line block ×4, first 2 shown]
	v_sub_f32_e32 v1, v8, v9
	v_sub_f32_e32 v2, v13, v14
	v_add_f32_e32 v3, v9, v14
	v_add_f32_e32 v7, v8, v13
	;; [unrolled: 1-line block ×3, first 2 shown]
	v_sub_f32_e32 v4, v9, v8
	v_sub_f32_e32 v5, v14, v13
	v_add_f32_e32 v19, v37, v9
	v_add_f32_e32 v22, v0, v15
	v_sub_f32_e32 v17, v0, v15
	v_sub_f32_e32 v24, v9, v14
	v_add_f32_e32 v27, v36, v0
	v_add_f32_e32 v28, v1, v2
	v_fma_f32 v1, -0.5, v3, v37
	v_fma_f32 v3, -0.5, v7, v37
	;; [unrolled: 1-line block ×3, first 2 shown]
	v_sub_f32_e32 v18, v6, v16
	v_sub_f32_e32 v20, v6, v0
	;; [unrolled: 1-line block ×6, first 2 shown]
	v_add_f32_e32 v29, v4, v5
	v_add_f32_e32 v4, v19, v8
	v_fma_f32 v0, -0.5, v22, v36
	v_add_f32_e32 v8, v27, v6
	v_fmamk_f32 v7, v17, 0x3f737871, v3
	v_fmac_f32_e32 v3, 0xbf737871, v17
	v_fmamk_f32 v6, v24, 0xbf737871, v2
	v_fmac_f32_e32 v2, 0x3f737871, v24
	v_add_f32_e32 v19, v20, v21
	v_add_f32_e32 v20, v9, v25
	v_fmamk_f32 v5, v18, 0xbf737871, v1
	v_fmac_f32_e32 v1, 0x3f737871, v18
	v_add_f32_e32 v9, v4, v13
	v_fmamk_f32 v4, v23, 0x3f737871, v0
	v_fmac_f32_e32 v0, 0xbf737871, v23
	v_add_f32_e32 v8, v8, v16
	v_fmac_f32_e32 v3, 0xbf167918, v18
	v_fmac_f32_e32 v2, 0x3f167918, v23
	;; [unrolled: 1-line block ×8, first 2 shown]
	v_add_f32_e32 v9, v9, v14
	v_add_f32_e32 v8, v8, v15
	v_fmac_f32_e32 v3, 0x3e9e377a, v29
	v_fmac_f32_e32 v2, 0x3e9e377a, v20
	;; [unrolled: 1-line block ×8, first 2 shown]
	ds_write2_b64 v11, v[8:9], v[2:3] offset0:123 offset1:140
	ds_write2_b64 v12, v[0:1], v[4:5] offset0:29 offset1:46
	ds_write_b64 v10, v[6:7] offset:10744
.LBB0_16:
	s_or_b32 exec_lo, exec_lo, s1
	v_mul_u32_u24_e32 v0, 15, v32
	s_waitcnt lgkmcnt(0)
	s_barrier
	buffer_gl0_inv
	v_add_nc_u32_e32 v36, 0x400, v56
	v_lshlrev_b32_e32 v28, 3, v0
	v_add_nc_u32_e32 v69, 0x800, v56
	v_add_nc_u32_e32 v70, 0x1000, v56
	;; [unrolled: 1-line block ×4, first 2 shown]
	s_clause 0x7
	global_load_dwordx4 v[0:3], v28, s[8:9] offset:544
	global_load_dwordx4 v[4:7], v28, s[8:9] offset:560
	;; [unrolled: 1-line block ×7, first 2 shown]
	global_load_dwordx2 v[52:53], v28, s[8:9] offset:656
	v_add_nc_u32_e32 v72, 0x2000, v56
	ds_read2_b64 v[28:31], v56 offset0:85 offset1:170
	ds_read2_b64 v[36:39], v36 offset0:127 offset1:212
	;; [unrolled: 1-line block ×3, first 2 shown]
	ds_read_b64 v[65:66], v54
	ds_read_b64 v[67:68], v56 offset:10200
	ds_read2_b64 v[44:47], v70 offset0:83 offset1:168
	ds_read2_b64 v[48:51], v48 offset0:125 offset1:210
	;; [unrolled: 1-line block ×4, first 2 shown]
	v_add_nc_u32_e32 v73, 0xc00, v56
	v_add_nc_u32_e32 v74, 0x1c00, v56
	s_waitcnt vmcnt(0) lgkmcnt(0)
	s_barrier
	buffer_gl0_inv
	s_add_u32 s1, s8, 0x29f8
	s_addc_u32 s4, s9, 0
	s_mov_b32 s5, exec_lo
	v_mul_f32_e32 v75, v1, v29
	v_mul_f32_e32 v1, v1, v28
	;; [unrolled: 1-line block ×30, first 2 shown]
	v_fma_f32 v28, v0, v28, -v75
	v_fmac_f32_e32 v1, v0, v29
	v_fma_f32 v0, v2, v30, -v76
	v_fmac_f32_e32 v3, v2, v31
	;; [unrolled: 2-line block ×15, first 2 shown]
	v_sub_f32_e32 v12, v65, v12
	v_sub_f32_e32 v15, v66, v15
	;; [unrolled: 1-line block ×16, first 2 shown]
	v_fma_f32 v30, v65, 2.0, -v12
	v_fma_f32 v31, v66, 2.0, -v15
	;; [unrolled: 1-line block ×16, first 2 shown]
	v_sub_f32_e32 v23, v12, v23
	v_add_f32_e32 v20, v15, v20
	v_sub_f32_e32 v27, v16, v27
	v_add_f32_e32 v24, v19, v24
	v_sub_f32_e32 v25, v14, v25
	v_add_f32_e32 v22, v17, v22
	v_sub_f32_e32 v29, v18, v29
	v_add_f32_e32 v26, v21, v26
	v_sub_f32_e32 v4, v30, v4
	v_sub_f32_e32 v7, v31, v7
	v_fma_f32 v12, v12, 2.0, -v23
	v_fma_f32 v15, v15, 2.0, -v20
	v_sub_f32_e32 v8, v0, v8
	v_sub_f32_e32 v11, v3, v11
	v_fma_f32 v16, v16, 2.0, -v27
	v_fma_f32 v19, v19, 2.0, -v24
	;; [unrolled: 4-line block ×4, first 2 shown]
	v_fmamk_f32 v36, v27, 0x3f3504f3, v23
	v_fmamk_f32 v37, v24, 0x3f3504f3, v20
	;; [unrolled: 1-line block ×4, first 2 shown]
	v_fma_f32 v30, v30, 2.0, -v4
	v_fma_f32 v31, v31, 2.0, -v7
	v_fma_f32 v0, v0, 2.0, -v8
	v_fma_f32 v3, v3, 2.0, -v11
	v_fma_f32 v28, v28, 2.0, -v6
	v_fma_f32 v40, v1, 2.0, -v9
	v_fma_f32 v1, v2, 2.0, -v10
	v_fma_f32 v2, v5, 2.0, -v13
	v_fmamk_f32 v41, v16, 0xbf3504f3, v12
	v_fmamk_f32 v42, v19, 0xbf3504f3, v15
	v_fmac_f32_e32 v36, 0xbf3504f3, v24
	v_fmac_f32_e32 v37, 0x3f3504f3, v27
	v_fmamk_f32 v24, v18, 0xbf3504f3, v14
	v_fmamk_f32 v27, v21, 0xbf3504f3, v17
	v_sub_f32_e32 v43, v4, v11
	v_add_f32_e32 v44, v7, v8
	v_sub_f32_e32 v13, v6, v13
	v_add_f32_e32 v45, v9, v10
	v_fmac_f32_e32 v38, 0xbf3504f3, v26
	v_fmac_f32_e32 v39, 0x3f3504f3, v29
	v_sub_f32_e32 v26, v30, v0
	v_sub_f32_e32 v29, v31, v3
	v_fmac_f32_e32 v41, 0xbf3504f3, v19
	v_fmac_f32_e32 v42, 0x3f3504f3, v16
	v_sub_f32_e32 v10, v28, v1
	v_sub_f32_e32 v8, v40, v2
	v_fmac_f32_e32 v24, 0xbf3504f3, v21
	v_fmac_f32_e32 v27, 0x3f3504f3, v18
	v_fma_f32 v46, v4, 2.0, -v43
	v_fma_f32 v47, v7, 2.0, -v44
	;; [unrolled: 1-line block ×8, first 2 shown]
	v_fmamk_f32 v0, v13, 0x3f3504f3, v43
	v_fmamk_f32 v1, v45, 0x3f3504f3, v44
	;; [unrolled: 1-line block ×4, first 2 shown]
	v_fma_f32 v22, v30, 2.0, -v26
	v_fma_f32 v25, v31, 2.0, -v29
	;; [unrolled: 1-line block ×8, first 2 shown]
	v_fmamk_f32 v4, v16, 0xbf3504f3, v46
	v_fmamk_f32 v5, v18, 0xbf3504f3, v47
	v_fmamk_f32 v6, v19, 0xbec3ef15, v23
	v_fmamk_f32 v7, v20, 0xbec3ef15, v48
	v_add_f32_e32 v9, v29, v10
	v_fmamk_f32 v10, v24, 0x3ec3ef15, v41
	v_fmamk_f32 v11, v27, 0x3ec3ef15, v42
	v_fmac_f32_e32 v0, 0xbf3504f3, v45
	v_fmac_f32_e32 v1, 0x3f3504f3, v13
	v_fmac_f32_e32 v2, 0xbec3ef15, v39
	v_fmac_f32_e32 v3, 0x3ec3ef15, v38
	v_sub_f32_e32 v13, v25, v15
	v_fmamk_f32 v14, v28, 0xbf6c835e, v30
	v_fmamk_f32 v15, v40, 0xbf6c835e, v31
	v_sub_f32_e32 v12, v22, v12
	v_fmac_f32_e32 v4, 0xbf3504f3, v18
	v_fmac_f32_e32 v5, 0x3f3504f3, v16
	v_fmac_f32_e32 v6, 0xbf6c835e, v20
	v_fmac_f32_e32 v7, 0x3f6c835e, v19
	v_sub_f32_e32 v8, v26, v8
	v_fmac_f32_e32 v10, 0xbf6c835e, v27
	v_fmac_f32_e32 v11, 0x3f6c835e, v24
	v_fma_f32 v18, v43, 2.0, -v0
	v_fma_f32 v19, v44, 2.0, -v1
	;; [unrolled: 1-line block ×4, first 2 shown]
	v_fmac_f32_e32 v14, 0xbec3ef15, v40
	v_fmac_f32_e32 v15, 0x3ec3ef15, v28
	ds_write2_b64 v72, v[0:1], v[2:3] offset0:166 offset1:251
	v_fma_f32 v0, v22, 2.0, -v12
	v_fma_f32 v2, v46, 2.0, -v4
	;; [unrolled: 1-line block ×10, first 2 shown]
	ds_write2_b64 v73, v[18:19], v[20:21] offset0:126 offset1:211
	ds_write2_b64 v71, v[4:5], v[6:7] offset0:82 offset1:167
	v_fma_f32 v4, v30, 2.0, -v14
	v_fma_f32 v5, v31, 2.0, -v15
	ds_write2_b64 v74, v[8:9], v[10:11] offset0:124 offset1:209
	ds_write2_b64 v56, v[2:3], v[22:23] offset0:170 offset1:255
	;; [unrolled: 1-line block ×4, first 2 shown]
	ds_write2_b64 v56, v[0:1], v[4:5] offset1:85
	s_waitcnt lgkmcnt(0)
	s_barrier
	buffer_gl0_inv
	ds_read_b64 v[0:1], v54
	v_sub_nc_u32_e32 v6, v33, v55
                                        ; implicit-def: $vgpr2
                                        ; implicit-def: $vgpr7
                                        ; implicit-def: $vgpr8
                                        ; implicit-def: $vgpr4_vgpr5
	v_cmpx_ne_u32_e32 0, v32
	s_xor_b32 s5, exec_lo, s5
	s_cbranch_execz .LBB0_18
; %bb.17:
	v_mov_b32_e32 v33, 0
	ds_read_b64 v[4:5], v6 offset:10880
	v_lshlrev_b64 v[2:3], 3, v[32:33]
	v_add_co_u32 v2, s0, s1, v2
	v_add_co_ci_u32_e64 v3, s0, s4, v3, s0
	global_load_dwordx2 v[2:3], v[2:3], off
	s_waitcnt lgkmcnt(0)
	v_sub_f32_e32 v7, v0, v4
	v_add_f32_e32 v8, v5, v1
	v_sub_f32_e32 v1, v1, v5
	v_add_f32_e32 v0, v4, v0
	v_mul_f32_e32 v5, 0.5, v7
	v_mul_f32_e32 v9, 0.5, v8
	;; [unrolled: 1-line block ×3, first 2 shown]
	s_waitcnt vmcnt(0)
	v_mul_f32_e32 v4, v3, v5
	v_fma_f32 v8, v9, v3, v1
	v_fma_f32 v1, v9, v3, -v1
	v_fma_f32 v7, 0.5, v0, v4
	v_fma_f32 v0, v0, 0.5, -v4
	v_fma_f32 v8, -v2, v5, v8
	v_fma_f32 v3, -v2, v5, v1
	v_mov_b32_e32 v4, v32
	v_fmac_f32_e32 v7, v2, v9
	v_fma_f32 v2, -v2, v9, v0
	v_mov_b32_e32 v5, v33
                                        ; implicit-def: $vgpr0_vgpr1
                                        ; implicit-def: $vgpr33
.LBB0_18:
	s_andn2_saveexec_b32 s0, s5
	s_cbranch_execz .LBB0_20
; %bb.19:
	ds_read_b32 v3, v33 offset:5444
	v_mov_b32_e32 v4, 0
	s_waitcnt lgkmcnt(1)
	v_add_f32_e32 v7, v0, v1
	v_sub_f32_e32 v2, v0, v1
	v_mov_b32_e32 v5, 0
	v_mov_b32_e32 v8, 0
	s_waitcnt lgkmcnt(0)
	v_xor_b32_e32 v0, 0x80000000, v3
	v_mov_b32_e32 v3, 0
	ds_write_b32 v33, v0 offset:5444
.LBB0_20:
	s_or_b32 exec_lo, exec_lo, s0
	s_waitcnt lgkmcnt(0)
	v_lshlrev_b64 v[0:1], 3, v[4:5]
	v_add_co_u32 v4, s0, s1, v0
	v_add_co_ci_u32_e64 v5, s0, s4, v1, s0
	s_clause 0x2
	global_load_dwordx2 v[9:10], v[4:5], off offset:680
	global_load_dwordx2 v[11:12], v[4:5], off offset:1360
	;; [unrolled: 1-line block ×3, first 2 shown]
	v_add_co_u32 v15, s0, 0x800, v4
	v_add_co_ci_u32_e64 v16, s0, 0, v5, s0
	s_clause 0x2
	global_load_dwordx2 v[17:18], v[15:16], off offset:672
	global_load_dwordx2 v[19:20], v[15:16], off offset:1352
	;; [unrolled: 1-line block ×3, first 2 shown]
	v_add_co_u32 v4, s0, 0x1000, v4
	v_add_co_ci_u32_e64 v5, s0, 0, v5, s0
	ds_write2_b32 v54, v7, v8 offset1:1
	ds_write_b64 v6, v[2:3] offset:10880
	global_load_dwordx2 v[4:5], v[4:5], off offset:664
	ds_read_b64 v[2:3], v54 offset:680
	ds_read_b64 v[7:8], v6 offset:10200
	s_waitcnt lgkmcnt(0)
	v_sub_f32_e32 v21, v2, v7
	v_add_f32_e32 v22, v3, v8
	v_sub_f32_e32 v3, v3, v8
	v_add_f32_e32 v2, v2, v7
	v_mul_f32_e32 v8, 0.5, v21
	v_mul_f32_e32 v21, 0.5, v22
	;; [unrolled: 1-line block ×3, first 2 shown]
	s_waitcnt vmcnt(6)
	v_mul_f32_e32 v7, v10, v8
	v_fma_f32 v22, v21, v10, v3
	v_fma_f32 v3, v21, v10, -v3
	v_fma_f32 v10, 0.5, v2, v7
	v_fma_f32 v2, v2, 0.5, -v7
	v_fma_f32 v7, -v9, v8, v22
	v_fma_f32 v3, -v9, v8, v3
	v_fmac_f32_e32 v10, v9, v21
	v_fma_f32 v2, -v9, v21, v2
	v_add_nc_u32_e32 v21, 0x400, v54
	ds_write2_b32 v54, v10, v7 offset0:170 offset1:171
	ds_write_b64 v6, v[2:3] offset:10200
	ds_read_b64 v[2:3], v54 offset:1360
	ds_read_b64 v[7:8], v6 offset:9520
	s_waitcnt lgkmcnt(0)
	v_sub_f32_e32 v9, v2, v7
	v_add_f32_e32 v10, v3, v8
	v_sub_f32_e32 v3, v3, v8
	v_add_f32_e32 v2, v2, v7
	v_mul_f32_e32 v8, 0.5, v9
	v_mul_f32_e32 v9, 0.5, v10
	;; [unrolled: 1-line block ×3, first 2 shown]
	s_waitcnt vmcnt(5)
	v_mul_f32_e32 v7, v12, v8
	v_fma_f32 v10, v9, v12, v3
	v_fma_f32 v3, v9, v12, -v3
	v_fma_f32 v12, 0.5, v2, v7
	v_fma_f32 v2, v2, 0.5, -v7
	v_fma_f32 v7, -v11, v8, v10
	v_fma_f32 v3, -v11, v8, v3
	v_fmac_f32_e32 v12, v11, v9
	v_fma_f32 v2, -v11, v9, v2
	ds_write2_b32 v21, v12, v7 offset0:84 offset1:85
	ds_write_b64 v6, v[2:3] offset:9520
	ds_read_b64 v[2:3], v54 offset:2040
	ds_read_b64 v[7:8], v6 offset:8840
	s_waitcnt lgkmcnt(0)
	v_sub_f32_e32 v9, v2, v7
	v_add_f32_e32 v10, v3, v8
	v_sub_f32_e32 v3, v3, v8
	v_add_f32_e32 v2, v2, v7
	v_mul_f32_e32 v8, 0.5, v9
	v_mul_f32_e32 v9, 0.5, v10
	;; [unrolled: 1-line block ×3, first 2 shown]
	s_waitcnt vmcnt(4)
	v_mul_f32_e32 v7, v14, v8
	v_fma_f32 v10, v9, v14, v3
	v_fma_f32 v3, v9, v14, -v3
	v_fma_f32 v11, 0.5, v2, v7
	v_fma_f32 v2, v2, 0.5, -v7
	v_fma_f32 v7, -v13, v8, v10
	v_fma_f32 v3, -v13, v8, v3
	v_fmac_f32_e32 v11, v13, v9
	v_fma_f32 v2, -v13, v9, v2
	ds_write2_b32 v21, v11, v7 offset0:254 offset1:255
	ds_write_b64 v6, v[2:3] offset:8840
	ds_read_b64 v[2:3], v54 offset:2720
	ds_read_b64 v[7:8], v6 offset:8160
	s_waitcnt lgkmcnt(0)
	v_sub_f32_e32 v9, v2, v7
	v_add_f32_e32 v10, v3, v8
	v_sub_f32_e32 v3, v3, v8
	v_add_f32_e32 v2, v2, v7
	v_mul_f32_e32 v8, 0.5, v9
	v_mul_f32_e32 v9, 0.5, v10
	;; [unrolled: 1-line block ×3, first 2 shown]
	s_waitcnt vmcnt(3)
	v_mul_f32_e32 v7, v18, v8
	v_fma_f32 v10, v9, v18, v3
	v_fma_f32 v3, v9, v18, -v3
	v_fma_f32 v11, 0.5, v2, v7
	v_fma_f32 v7, v2, 0.5, -v7
	v_add_nc_u32_e32 v2, 0x800, v54
	v_fma_f32 v10, -v17, v8, v10
	v_fma_f32 v8, -v17, v8, v3
	v_fmac_f32_e32 v11, v17, v9
	v_fma_f32 v7, -v17, v9, v7
	ds_write2_b32 v2, v11, v10 offset0:168 offset1:169
	ds_write_b64 v6, v[7:8] offset:8160
	ds_read_b64 v[7:8], v54 offset:3400
	ds_read_b64 v[9:10], v6 offset:7480
	s_waitcnt lgkmcnt(0)
	v_sub_f32_e32 v3, v7, v9
	v_add_f32_e32 v11, v8, v10
	v_sub_f32_e32 v8, v8, v10
	v_add_f32_e32 v7, v7, v9
	v_mul_f32_e32 v10, 0.5, v3
	v_mul_f32_e32 v11, 0.5, v11
	;; [unrolled: 1-line block ×3, first 2 shown]
	s_waitcnt vmcnt(2)
	v_mul_f32_e32 v8, v20, v10
	v_fma_f32 v9, v11, v20, v3
	v_fma_f32 v12, v11, v20, -v3
	v_add_nc_u32_e32 v3, 0xc00, v54
	v_fma_f32 v13, 0.5, v7, v8
	v_fma_f32 v7, v7, 0.5, -v8
	v_fma_f32 v9, -v19, v10, v9
	v_fma_f32 v8, -v19, v10, v12
	v_fmac_f32_e32 v13, v19, v11
	v_fma_f32 v7, -v19, v11, v7
	ds_write2_b32 v3, v13, v9 offset0:82 offset1:83
	ds_write_b64 v6, v[7:8] offset:7480
	ds_read_b64 v[7:8], v54 offset:4080
	ds_read_b64 v[9:10], v6 offset:6800
	s_waitcnt lgkmcnt(0)
	v_sub_f32_e32 v11, v7, v9
	v_add_f32_e32 v12, v8, v10
	v_sub_f32_e32 v8, v8, v10
	v_add_f32_e32 v7, v7, v9
	v_mul_f32_e32 v10, 0.5, v11
	v_mul_f32_e32 v11, 0.5, v12
	;; [unrolled: 1-line block ×3, first 2 shown]
	s_waitcnt vmcnt(1)
	v_mul_f32_e32 v9, v16, v10
	v_fma_f32 v12, v11, v16, v8
	v_fma_f32 v8, v11, v16, -v8
	v_fma_f32 v13, 0.5, v7, v9
	v_fma_f32 v7, v7, 0.5, -v9
	v_fma_f32 v9, -v15, v10, v12
	v_fma_f32 v8, -v15, v10, v8
	v_fmac_f32_e32 v13, v15, v11
	v_fma_f32 v7, -v15, v11, v7
	ds_write2_b32 v3, v13, v9 offset0:252 offset1:253
	ds_write_b64 v6, v[7:8] offset:6800
	ds_read_b64 v[7:8], v54 offset:4760
	ds_read_b64 v[9:10], v6 offset:6120
	s_waitcnt lgkmcnt(0)
	v_sub_f32_e32 v11, v7, v9
	v_add_f32_e32 v12, v8, v10
	v_sub_f32_e32 v8, v8, v10
	v_add_f32_e32 v7, v7, v9
	v_mul_f32_e32 v10, 0.5, v11
	v_mul_f32_e32 v11, 0.5, v12
	;; [unrolled: 1-line block ×3, first 2 shown]
	s_waitcnt vmcnt(0)
	v_mul_f32_e32 v9, v5, v10
	v_fma_f32 v12, v11, v5, v8
	v_fma_f32 v5, v11, v5, -v8
	v_fma_f32 v8, 0.5, v7, v9
	v_fma_f32 v9, v7, 0.5, -v9
	v_add_nc_u32_e32 v7, 0x1000, v54
	v_fma_f32 v12, -v4, v10, v12
	v_fma_f32 v5, -v4, v10, v5
	v_fmac_f32_e32 v8, v4, v11
	v_fma_f32 v4, -v4, v11, v9
	ds_write2_b32 v7, v8, v12 offset0:166 offset1:167
	ds_write_b64 v6, v[4:5] offset:6120
	s_waitcnt lgkmcnt(0)
	s_barrier
	buffer_gl0_inv
	s_and_saveexec_b32 s0, vcc_lo
	s_cbranch_execz .LBB0_23
; %bb.21:
	ds_read2_b64 v[8:11], v54 offset1:85
	ds_read2_b64 v[12:15], v54 offset0:170 offset1:255
	v_add_co_u32 v4, vcc_lo, s2, v34
	v_add_co_ci_u32_e32 v5, vcc_lo, s3, v35, vcc_lo
	ds_read2_b64 v[16:19], v2 offset0:84 offset1:169
	v_add_co_u32 v28, vcc_lo, v4, v0
	v_add_co_ci_u32_e32 v29, vcc_lo, v5, v1, vcc_lo
	ds_read2_b64 v[0:3], v3 offset0:126 offset1:211
	ds_read2_b64 v[20:23], v7 offset0:168 offset1:253
	v_add_nc_u32_e32 v6, 0x1800, v54
	v_add_nc_u32_e32 v24, 0x1c00, v54
	s_waitcnt lgkmcnt(4)
	global_store_dwordx2 v[28:29], v[8:9], off
	global_store_dwordx2 v[28:29], v[10:11], off offset:680
	s_waitcnt lgkmcnt(3)
	global_store_dwordx2 v[28:29], v[12:13], off offset:1360
	global_store_dwordx2 v[28:29], v[14:15], off offset:2040
	ds_read2_b64 v[6:9], v6 offset0:82 offset1:167
	ds_read2_b64 v[10:13], v24 offset0:124 offset1:209
	v_add_nc_u32_e32 v24, 0x2000, v54
	v_add_co_u32 v14, vcc_lo, 0x800, v28
	v_add_co_ci_u32_e32 v15, vcc_lo, 0, v29, vcc_lo
	ds_read2_b64 v[24:27], v24 offset0:166 offset1:251
	v_add_co_u32 v30, vcc_lo, 0x1000, v28
	v_add_co_ci_u32_e32 v31, vcc_lo, 0, v29, vcc_lo
	s_waitcnt lgkmcnt(5)
	global_store_dwordx2 v[14:15], v[16:17], off offset:672
	global_store_dwordx2 v[14:15], v[18:19], off offset:1352
	s_waitcnt lgkmcnt(4)
	global_store_dwordx2 v[14:15], v[0:1], off offset:2032
	global_store_dwordx2 v[30:31], v[2:3], off offset:664
	;; [unrolled: 3-line block ×3, first 2 shown]
	v_add_co_u32 v0, vcc_lo, 0x1800, v28
	v_add_co_ci_u32_e32 v1, vcc_lo, 0, v29, vcc_lo
	v_add_co_u32 v2, vcc_lo, 0x2000, v28
	v_add_co_ci_u32_e32 v3, vcc_lo, 0, v29, vcc_lo
	v_cmp_eq_u32_e32 vcc_lo, 0x54, v32
	s_waitcnt lgkmcnt(2)
	global_store_dwordx2 v[0:1], v[6:7], off offset:656
	global_store_dwordx2 v[0:1], v[8:9], off offset:1336
	s_waitcnt lgkmcnt(1)
	global_store_dwordx2 v[0:1], v[10:11], off offset:2016
	global_store_dwordx2 v[2:3], v[12:13], off offset:648
	;; [unrolled: 3-line block ×3, first 2 shown]
	s_and_b32 exec_lo, exec_lo, vcc_lo
	s_cbranch_execz .LBB0_23
; %bb.22:
	ds_read_b64 v[0:1], v54 offset:10208
	v_add_co_u32 v2, vcc_lo, 0x2800, v4
	v_add_co_ci_u32_e32 v3, vcc_lo, 0, v5, vcc_lo
	s_waitcnt lgkmcnt(0)
	global_store_dwordx2 v[2:3], v[0:1], off offset:640
.LBB0_23:
	s_endpgm
	.section	.rodata,"a",@progbits
	.p2align	6, 0x0
	.amdhsa_kernel fft_rtc_fwd_len1360_factors_17_5_16_wgs_255_tpt_85_halfLds_sp_ip_CI_unitstride_sbrr_R2C_dirReg
		.amdhsa_group_segment_fixed_size 0
		.amdhsa_private_segment_fixed_size 0
		.amdhsa_kernarg_size 88
		.amdhsa_user_sgpr_count 6
		.amdhsa_user_sgpr_private_segment_buffer 1
		.amdhsa_user_sgpr_dispatch_ptr 0
		.amdhsa_user_sgpr_queue_ptr 0
		.amdhsa_user_sgpr_kernarg_segment_ptr 1
		.amdhsa_user_sgpr_dispatch_id 0
		.amdhsa_user_sgpr_flat_scratch_init 0
		.amdhsa_user_sgpr_private_segment_size 0
		.amdhsa_wavefront_size32 1
		.amdhsa_uses_dynamic_stack 0
		.amdhsa_system_sgpr_private_segment_wavefront_offset 0
		.amdhsa_system_sgpr_workgroup_id_x 1
		.amdhsa_system_sgpr_workgroup_id_y 0
		.amdhsa_system_sgpr_workgroup_id_z 0
		.amdhsa_system_sgpr_workgroup_info 0
		.amdhsa_system_vgpr_workitem_id 0
		.amdhsa_next_free_vgpr 217
		.amdhsa_next_free_sgpr 21
		.amdhsa_reserve_vcc 1
		.amdhsa_reserve_flat_scratch 0
		.amdhsa_float_round_mode_32 0
		.amdhsa_float_round_mode_16_64 0
		.amdhsa_float_denorm_mode_32 3
		.amdhsa_float_denorm_mode_16_64 3
		.amdhsa_dx10_clamp 1
		.amdhsa_ieee_mode 1
		.amdhsa_fp16_overflow 0
		.amdhsa_workgroup_processor_mode 1
		.amdhsa_memory_ordered 1
		.amdhsa_forward_progress 0
		.amdhsa_shared_vgpr_count 0
		.amdhsa_exception_fp_ieee_invalid_op 0
		.amdhsa_exception_fp_denorm_src 0
		.amdhsa_exception_fp_ieee_div_zero 0
		.amdhsa_exception_fp_ieee_overflow 0
		.amdhsa_exception_fp_ieee_underflow 0
		.amdhsa_exception_fp_ieee_inexact 0
		.amdhsa_exception_int_div_zero 0
	.end_amdhsa_kernel
	.text
.Lfunc_end0:
	.size	fft_rtc_fwd_len1360_factors_17_5_16_wgs_255_tpt_85_halfLds_sp_ip_CI_unitstride_sbrr_R2C_dirReg, .Lfunc_end0-fft_rtc_fwd_len1360_factors_17_5_16_wgs_255_tpt_85_halfLds_sp_ip_CI_unitstride_sbrr_R2C_dirReg
                                        ; -- End function
	.section	.AMDGPU.csdata,"",@progbits
; Kernel info:
; codeLenInByte = 12468
; NumSgprs: 23
; NumVgprs: 217
; ScratchSize: 0
; MemoryBound: 0
; FloatMode: 240
; IeeeMode: 1
; LDSByteSize: 0 bytes/workgroup (compile time only)
; SGPRBlocks: 2
; VGPRBlocks: 27
; NumSGPRsForWavesPerEU: 23
; NumVGPRsForWavesPerEU: 217
; Occupancy: 4
; WaveLimiterHint : 1
; COMPUTE_PGM_RSRC2:SCRATCH_EN: 0
; COMPUTE_PGM_RSRC2:USER_SGPR: 6
; COMPUTE_PGM_RSRC2:TRAP_HANDLER: 0
; COMPUTE_PGM_RSRC2:TGID_X_EN: 1
; COMPUTE_PGM_RSRC2:TGID_Y_EN: 0
; COMPUTE_PGM_RSRC2:TGID_Z_EN: 0
; COMPUTE_PGM_RSRC2:TIDIG_COMP_CNT: 0
	.text
	.p2alignl 6, 3214868480
	.fill 48, 4, 3214868480
	.type	__hip_cuid_93b3611f5b9fcf99,@object ; @__hip_cuid_93b3611f5b9fcf99
	.section	.bss,"aw",@nobits
	.globl	__hip_cuid_93b3611f5b9fcf99
__hip_cuid_93b3611f5b9fcf99:
	.byte	0                               ; 0x0
	.size	__hip_cuid_93b3611f5b9fcf99, 1

	.ident	"AMD clang version 19.0.0git (https://github.com/RadeonOpenCompute/llvm-project roc-6.4.0 25133 c7fe45cf4b819c5991fe208aaa96edf142730f1d)"
	.section	".note.GNU-stack","",@progbits
	.addrsig
	.addrsig_sym __hip_cuid_93b3611f5b9fcf99
	.amdgpu_metadata
---
amdhsa.kernels:
  - .args:
      - .actual_access:  read_only
        .address_space:  global
        .offset:         0
        .size:           8
        .value_kind:     global_buffer
      - .offset:         8
        .size:           8
        .value_kind:     by_value
      - .actual_access:  read_only
        .address_space:  global
        .offset:         16
        .size:           8
        .value_kind:     global_buffer
      - .actual_access:  read_only
        .address_space:  global
        .offset:         24
        .size:           8
        .value_kind:     global_buffer
      - .offset:         32
        .size:           8
        .value_kind:     by_value
      - .actual_access:  read_only
        .address_space:  global
        .offset:         40
        .size:           8
        .value_kind:     global_buffer
      - .actual_access:  read_only
        .address_space:  global
        .offset:         48
        .size:           8
        .value_kind:     global_buffer
      - .offset:         56
        .size:           4
        .value_kind:     by_value
      - .actual_access:  read_only
        .address_space:  global
        .offset:         64
        .size:           8
        .value_kind:     global_buffer
      - .actual_access:  read_only
        .address_space:  global
        .offset:         72
        .size:           8
        .value_kind:     global_buffer
      - .address_space:  global
        .offset:         80
        .size:           8
        .value_kind:     global_buffer
    .group_segment_fixed_size: 0
    .kernarg_segment_align: 8
    .kernarg_segment_size: 88
    .language:       OpenCL C
    .language_version:
      - 2
      - 0
    .max_flat_workgroup_size: 255
    .name:           fft_rtc_fwd_len1360_factors_17_5_16_wgs_255_tpt_85_halfLds_sp_ip_CI_unitstride_sbrr_R2C_dirReg
    .private_segment_fixed_size: 0
    .sgpr_count:     23
    .sgpr_spill_count: 0
    .symbol:         fft_rtc_fwd_len1360_factors_17_5_16_wgs_255_tpt_85_halfLds_sp_ip_CI_unitstride_sbrr_R2C_dirReg.kd
    .uniform_work_group_size: 1
    .uses_dynamic_stack: false
    .vgpr_count:     217
    .vgpr_spill_count: 0
    .wavefront_size: 32
    .workgroup_processor_mode: 1
amdhsa.target:   amdgcn-amd-amdhsa--gfx1030
amdhsa.version:
  - 1
  - 2
...

	.end_amdgpu_metadata
